;; amdgpu-corpus repo=ROCm/rocFFT kind=compiled arch=gfx1030 opt=O3
	.text
	.amdgcn_target "amdgcn-amd-amdhsa--gfx1030"
	.amdhsa_code_object_version 6
	.protected	bluestein_single_back_len1872_dim1_dp_op_CI_CI ; -- Begin function bluestein_single_back_len1872_dim1_dp_op_CI_CI
	.globl	bluestein_single_back_len1872_dim1_dp_op_CI_CI
	.p2align	8
	.type	bluestein_single_back_len1872_dim1_dp_op_CI_CI,@function
bluestein_single_back_len1872_dim1_dp_op_CI_CI: ; @bluestein_single_back_len1872_dim1_dp_op_CI_CI
; %bb.0:
	s_mov_b64 s[50:51], s[2:3]
	s_mov_b64 s[48:49], s[0:1]
	s_load_dwordx4 s[0:3], s[4:5], 0x28
	v_mul_u32_u24_e32 v1, 0x1a5, v0
	v_mov_b32_e32 v177, 0
	s_add_u32 s48, s48, s7
	s_addc_u32 s49, s49, 0
	v_lshrrev_b32_e32 v1, 16, v1
	v_add_nc_u32_e32 v176, s6, v1
	s_waitcnt lgkmcnt(0)
	v_cmp_gt_u64_e32 vcc_lo, s[0:1], v[176:177]
	s_and_saveexec_b32 s0, vcc_lo
	s_cbranch_execz .LBB0_15
; %bb.1:
	s_clause 0x1
	s_load_dwordx2 s[14:15], s[4:5], 0x0
	s_load_dwordx2 s[12:13], s[4:5], 0x38
	v_mul_lo_u16 v1, 0x9c, v1
	v_sub_nc_u16 v0, v0, v1
	v_and_b32_e32 v177, 0xffff, v0
	v_cmp_gt_u16_e32 vcc_lo, 0x90, v0
	v_lshlrev_b32_e32 v255, 4, v177
	s_and_saveexec_b32 s1, vcc_lo
	s_cbranch_execz .LBB0_3
; %bb.2:
	s_load_dwordx2 s[6:7], s[4:5], 0x18
	s_waitcnt lgkmcnt(0)
	v_add_co_u32 v90, s0, s14, v255
	v_add_co_ci_u32_e64 v91, null, s15, 0, s0
	global_load_dwordx4 v[0:3], v255, s[14:15]
	v_add_co_u32 v4, s0, 0x800, v90
	v_add_co_ci_u32_e64 v5, s0, 0, v91, s0
	v_add_co_u32 v8, s0, 0x1000, v90
	v_add_co_ci_u32_e64 v9, s0, 0, v91, s0
	;; [unrolled: 2-line block ×3, first 2 shown]
	v_add_co_u32 v16, s0, 0x2000, v90
	s_load_dwordx4 s[8:11], s[6:7], 0x0
	v_add_co_ci_u32_e64 v17, s0, 0, v91, s0
	v_add_co_u32 v20, s0, 0x2800, v90
	v_add_co_ci_u32_e64 v21, s0, 0, v91, s0
	v_add_co_u32 v24, s0, 0x3000, v90
	;; [unrolled: 2-line block ×5, first 2 shown]
	s_waitcnt lgkmcnt(0)
	v_mad_u64_u32 v[22:23], null, s10, v176, 0
	v_mad_u64_u32 v[26:27], null, s8, v177, 0
	v_add_co_ci_u32_e64 v37, s0, 0, v91, s0
	v_add_co_u32 v84, s0, 0x5800, v90
	v_mov_b32_e32 v6, v23
	v_add_co_ci_u32_e64 v85, s0, 0, v91, s0
	v_mov_b32_e32 v7, v27
	s_mul_i32 s6, s9, 0x900
	s_mul_hi_u32 s7, s8, 0x900
	s_add_i32 s7, s7, s6
	v_mad_u64_u32 v[10:11], null, s11, v176, v[6:7]
	v_mad_u64_u32 v[30:31], null, s9, v177, v[7:8]
	global_load_dwordx4 v[4:7], v[4:5], off offset:256
	v_mov_b32_e32 v23, v10
	s_clause 0x2
	global_load_dwordx4 v[8:11], v[8:9], off offset:512
	global_load_dwordx4 v[12:15], v[12:13], off offset:768
	;; [unrolled: 1-line block ×3, first 2 shown]
	v_mov_b32_e32 v27, v30
	s_clause 0x1
	global_load_dwordx4 v[36:39], v[36:37], off offset:256
	global_load_dwordx4 v[32:35], v[32:33], off
	v_lshlrev_b64 v[30:31], 4, v[22:23]
	global_load_dwordx4 v[20:23], v[20:21], off offset:1280
	v_lshlrev_b64 v[26:27], 4, v[26:27]
	v_add_co_u32 v30, s0, s2, v30
	v_add_co_ci_u32_e64 v31, s0, s3, v31, s0
	s_mul_i32 s2, s8, 0x900
	v_add_co_u32 v40, s0, v30, v26
	v_add_co_ci_u32_e64 v41, s0, v31, v27, s0
	global_load_dwordx4 v[24:27], v[24:25], off offset:1536
	v_add_co_u32 v44, s0, v40, s2
	v_add_co_ci_u32_e64 v45, s0, s7, v41, s0
	global_load_dwordx4 v[28:31], v[28:29], off offset:1792
	v_add_co_u32 v48, s0, v44, s2
	v_add_co_ci_u32_e64 v49, s0, s7, v45, s0
	s_clause 0x1
	global_load_dwordx4 v[40:43], v[40:41], off
	global_load_dwordx4 v[44:47], v[44:45], off
	v_add_co_u32 v52, s0, v48, s2
	v_add_co_ci_u32_e64 v53, s0, s7, v49, s0
	global_load_dwordx4 v[48:51], v[48:49], off
	v_add_co_u32 v56, s0, v52, s2
	v_add_co_ci_u32_e64 v57, s0, s7, v53, s0
	;; [unrolled: 3-line block ×5, first 2 shown]
	v_add_co_u32 v72, s0, v68, s2
	v_add_co_ci_u32_e64 v73, s0, s7, v69, s0
	v_add_co_u32 v76, s0, v72, s2
	v_add_co_ci_u32_e64 v77, s0, s7, v73, s0
	;; [unrolled: 2-line block ×3, first 2 shown]
	global_load_dwordx4 v[64:67], v[64:65], off
	global_load_dwordx4 v[68:71], v[68:69], off
	global_load_dwordx4 v[72:75], v[72:73], off
	global_load_dwordx4 v[76:79], v[76:77], off
	global_load_dwordx4 v[80:83], v[86:87], off
	v_add_co_u32 v88, s0, v86, s2
	v_add_co_ci_u32_e64 v89, s0, s7, v87, s0
	v_add_co_u32 v92, s0, 0x6000, v90
	v_add_co_ci_u32_e64 v93, s0, 0, v91, s0
	;; [unrolled: 2-line block ×4, first 2 shown]
	global_load_dwordx4 v[84:87], v[84:85], off offset:512
	global_load_dwordx4 v[88:91], v[88:89], off
	s_clause 0x1
	global_load_dwordx4 v[92:95], v[92:93], off offset:768
	global_load_dwordx4 v[96:99], v[96:97], off offset:1024
	global_load_dwordx4 v[100:103], v[100:101], off
	s_waitcnt vmcnt(15)
	v_mul_f64 v[104:105], v[42:43], v[2:3]
	v_mul_f64 v[2:3], v[40:41], v[2:3]
	s_waitcnt vmcnt(14)
	v_mul_f64 v[106:107], v[46:47], v[6:7]
	v_mul_f64 v[6:7], v[44:45], v[6:7]
	;; [unrolled: 3-line block ×5, first 2 shown]
	v_fma_f64 v[40:41], v[40:41], v[0:1], v[104:105]
	s_waitcnt vmcnt(10)
	v_mul_f64 v[104:105], v[62:63], v[22:23]
	v_mul_f64 v[22:23], v[60:61], v[22:23]
	v_fma_f64 v[42:43], v[42:43], v[0:1], -v[2:3]
	v_fma_f64 v[0:1], v[44:45], v[4:5], v[106:107]
	v_fma_f64 v[2:3], v[46:47], v[4:5], -v[6:7]
	v_fma_f64 v[4:5], v[48:49], v[8:9], v[108:109]
	;; [unrolled: 2-line block ×3, first 2 shown]
	v_fma_f64 v[10:11], v[54:55], v[12:13], -v[14:15]
	s_waitcnt vmcnt(9)
	v_mul_f64 v[44:45], v[66:67], v[26:27]
	v_mul_f64 v[26:27], v[64:65], v[26:27]
	s_waitcnt vmcnt(8)
	v_mul_f64 v[46:47], v[70:71], v[30:31]
	v_mul_f64 v[30:31], v[68:69], v[30:31]
	;; [unrolled: 3-line block ×4, first 2 shown]
	v_fma_f64 v[12:13], v[56:57], v[16:17], v[112:113]
	v_fma_f64 v[14:15], v[58:59], v[16:17], -v[18:19]
	v_fma_f64 v[16:17], v[60:61], v[20:21], v[104:105]
	v_fma_f64 v[18:19], v[62:63], v[20:21], -v[22:23]
	s_waitcnt vmcnt(4)
	v_mul_f64 v[116:117], v[82:83], v[86:87]
	v_mul_f64 v[86:87], v[80:81], v[86:87]
	s_waitcnt vmcnt(2)
	v_mul_f64 v[118:119], v[90:91], v[94:95]
	v_mul_f64 v[94:95], v[88:89], v[94:95]
	;; [unrolled: 3-line block ×3, first 2 shown]
	v_fma_f64 v[20:21], v[64:65], v[24:25], v[44:45]
	v_fma_f64 v[22:23], v[66:67], v[24:25], -v[26:27]
	v_fma_f64 v[24:25], v[68:69], v[28:29], v[46:47]
	v_fma_f64 v[26:27], v[70:71], v[28:29], -v[30:31]
	;; [unrolled: 2-line block ×7, first 2 shown]
	ds_write_b128 v255, v[40:43]
	ds_write_b128 v255, v[0:3] offset:2304
	ds_write_b128 v255, v[4:7] offset:4608
	;; [unrolled: 1-line block ×12, first 2 shown]
.LBB0_3:
	s_or_b32 exec_lo, exec_lo, s1
	s_clause 0x1
	s_load_dwordx2 s[2:3], s[4:5], 0x20
	s_load_dwordx2 s[0:1], s[4:5], 0x8
	s_waitcnt lgkmcnt(0)
	s_barrier
	buffer_gl0_inv
                                        ; implicit-def: $vgpr4_vgpr5
                                        ; implicit-def: $vgpr44_vgpr45
                                        ; implicit-def: $vgpr36_vgpr37
                                        ; implicit-def: $vgpr28_vgpr29
                                        ; implicit-def: $vgpr24_vgpr25
                                        ; implicit-def: $vgpr12_vgpr13
                                        ; implicit-def: $vgpr8_vgpr9
                                        ; implicit-def: $vgpr16_vgpr17
                                        ; implicit-def: $vgpr20_vgpr21
                                        ; implicit-def: $vgpr32_vgpr33
                                        ; implicit-def: $vgpr40_vgpr41
                                        ; implicit-def: $vgpr48_vgpr49
                                        ; implicit-def: $vgpr52_vgpr53
	s_and_saveexec_b32 s4, vcc_lo
	s_cbranch_execz .LBB0_5
; %bb.4:
	ds_read_b128 v[4:7], v255
	ds_read_b128 v[52:55], v255 offset:2304
	ds_read_b128 v[48:51], v255 offset:4608
	;; [unrolled: 1-line block ×12, first 2 shown]
.LBB0_5:
	s_or_b32 exec_lo, exec_lo, s4
	s_waitcnt lgkmcnt(0)
	v_add_f64 v[84:85], v[54:55], -v[10:11]
	v_add_f64 v[68:69], v[52:53], -v[8:9]
	s_mov_b32 s4, 0x4267c47c
	s_mov_b32 s5, 0xbfddbe06
	v_add_f64 v[66:67], v[8:9], v[52:53]
	v_add_f64 v[92:93], v[10:11], v[54:55]
	v_add_f64 v[78:79], v[50:51], -v[14:15]
	v_add_f64 v[56:57], v[48:49], -v[12:13]
	s_mov_b32 s6, 0xe00740e9
	s_mov_b32 s8, 0x42a4c3d2
	;; [unrolled: 1-line block ×4, first 2 shown]
	v_add_f64 v[58:59], v[12:13], v[48:49]
	v_add_f64 v[102:103], v[14:15], v[50:51]
	v_add_f64 v[86:87], v[46:47], -v[18:19]
	v_add_f64 v[60:61], v[44:45], -v[16:17]
	s_mov_b32 s10, 0x1ea71119
	s_mov_b32 s16, 0x66966769
	;; [unrolled: 1-line block ×4, first 2 shown]
	v_add_f64 v[62:63], v[44:45], v[16:17]
	v_add_f64 v[100:101], v[46:47], v[18:19]
	v_mul_f64 v[82:83], v[84:85], s[4:5]
	v_mul_f64 v[88:89], v[68:69], s[4:5]
	v_add_f64 v[64:65], v[36:37], -v[20:21]
	v_add_f64 v[96:97], v[38:39], -v[22:23]
	s_mov_b32 s18, 0xebaa3ed8
	s_mov_b32 s26, 0x2ef20147
	v_mul_f64 v[94:95], v[78:79], s[8:9]
	v_mul_f64 v[98:99], v[56:57], s[8:9]
	s_mov_b32 s19, 0x3fbedb7d
	s_mov_b32 s27, 0xbfedeba7
	v_add_f64 v[70:71], v[36:37], v[20:21]
	v_add_f64 v[114:115], v[38:39], v[22:23]
	v_add_f64 v[72:73], v[40:41], -v[24:25]
	v_add_f64 v[112:113], v[42:43], -v[26:27]
	v_mul_f64 v[90:91], v[86:87], s[16:17]
	v_mul_f64 v[106:107], v[60:61], s[16:17]
	s_mov_b32 s24, 0xb2365da1
	s_mov_b32 s20, 0x24c2f84
	;; [unrolled: 1-line block ×4, first 2 shown]
	v_add_f64 v[124:125], v[26:27], v[42:43]
	v_add_f64 v[122:123], v[34:35], -v[30:31]
	v_fma_f64 v[0:1], v[66:67], s[6:7], v[82:83]
	v_fma_f64 v[2:3], v[92:93], s[6:7], -v[88:89]
	v_mul_f64 v[108:109], v[64:65], s[26:27]
	v_mul_f64 v[104:105], v[96:97], s[26:27]
	s_mov_b32 s22, 0xd0032e0c
	s_mov_b32 s30, 0x4bc48dbf
	v_fma_f64 v[74:75], v[58:59], s[10:11], v[94:95]
	v_fma_f64 v[76:77], v[102:103], s[10:11], -v[98:99]
	s_mov_b32 s23, 0xbfe7f3cc
	s_mov_b32 s31, 0xbfcea1e5
	v_add_f64 v[126:127], v[30:31], v[34:35]
	s_mov_b32 s28, 0x93053d00
	v_mul_f64 v[120:121], v[72:73], s[20:21]
	v_mul_f64 v[116:117], v[112:113], s[20:21]
	v_fma_f64 v[80:81], v[62:63], s[18:19], v[90:91]
	v_fma_f64 v[110:111], v[100:101], s[18:19], -v[106:107]
	s_mov_b32 s29, 0xbfef11f4
	v_mul_lo_u16 v247, v177, 13
	s_barrier
	buffer_gl0_inv
	v_add_f64 v[0:1], v[4:5], v[0:1]
	v_add_f64 v[2:3], v[6:7], v[2:3]
	v_fma_f64 v[130:131], v[114:115], s[24:25], -v[108:109]
	v_fma_f64 v[128:129], v[70:71], s[24:25], v[104:105]
	v_fma_f64 v[134:135], v[124:125], s[22:23], -v[120:121]
	v_add_f64 v[0:1], v[74:75], v[0:1]
	v_add_f64 v[2:3], v[76:77], v[2:3]
	;; [unrolled: 1-line block ×3, first 2 shown]
	v_add_f64 v[76:77], v[32:33], -v[28:29]
	v_add_f64 v[0:1], v[80:81], v[0:1]
	v_add_f64 v[2:3], v[110:111], v[2:3]
	;; [unrolled: 1-line block ×3, first 2 shown]
	v_mul_f64 v[110:111], v[122:123], s[30:31]
	v_mul_f64 v[118:119], v[76:77], s[30:31]
	v_fma_f64 v[132:133], v[74:75], s[22:23], v[116:117]
	v_add_f64 v[0:1], v[128:129], v[0:1]
	v_add_f64 v[2:3], v[130:131], v[2:3]
	v_fma_f64 v[128:129], v[80:81], s[28:29], v[110:111]
	v_fma_f64 v[130:131], v[126:127], s[28:29], -v[118:119]
	v_add_f64 v[0:1], v[132:133], v[0:1]
	v_add_f64 v[2:3], v[134:135], v[2:3]
	v_add_f64 v[0:1], v[128:129], v[0:1]
	v_add_f64 v[2:3], v[130:131], v[2:3]
	s_and_saveexec_b32 s33, vcc_lo
	s_cbranch_execz .LBB0_7
; %bb.6:
	v_mul_f64 v[128:129], v[92:93], s[28:29]
	v_mul_f64 v[136:137], v[84:85], s[30:31]
	s_mov_b32 s37, 0x3fcea1e5
	s_mov_b32 s35, 0x3fddbe06
	;; [unrolled: 1-line block ×4, first 2 shown]
	v_mul_f64 v[134:135], v[102:103], s[6:7]
	v_mul_f64 v[148:149], v[78:79], s[34:35]
	;; [unrolled: 1-line block ×4, first 2 shown]
	v_add_f64 v[54:55], v[6:7], v[54:55]
	v_add_f64 v[52:53], v[4:5], v[52:53]
	v_mul_f64 v[144:145], v[92:93], s[22:23]
	v_mul_f64 v[156:157], v[84:85], s[20:21]
	;; [unrolled: 1-line block ×3, first 2 shown]
	s_mov_b32 s39, 0x3fe5384d
	s_mov_b32 s41, 0x3fea55e2
	;; [unrolled: 1-line block ×7, first 2 shown]
	v_fma_f64 v[150:151], v[68:69], s[36:37], v[128:129]
	v_fma_f64 v[152:153], v[66:67], s[28:29], v[136:137]
	v_fma_f64 v[128:129], v[68:69], s[30:31], v[128:129]
	s_mov_b32 s44, s26
	v_mul_f64 v[138:139], v[114:115], s[10:11]
	v_mul_f64 v[168:169], v[102:103], s[18:19]
	v_fma_f64 v[187:188], v[56:57], s[4:5], v[134:135]
	v_fma_f64 v[189:190], v[58:59], s[6:7], v[148:149]
	v_mul_f64 v[172:173], v[84:85], s[26:27]
	v_mul_f64 v[207:208], v[96:97], s[40:41]
	;; [unrolled: 1-line block ×3, first 2 shown]
	v_fma_f64 v[217:218], v[60:61], s[38:39], v[130:131]
	v_fma_f64 v[219:220], v[62:63], s[22:23], v[132:133]
	v_fma_f64 v[136:137], v[66:67], s[28:29], -v[136:137]
	v_fma_f64 v[221:222], v[68:69], s[38:39], v[144:145]
	v_fma_f64 v[223:224], v[66:67], s[22:23], v[156:157]
	;; [unrolled: 1-line block ×3, first 2 shown]
	v_fma_f64 v[156:157], v[66:67], s[22:23], -v[156:157]
	v_add_f64 v[50:51], v[50:51], v[54:55]
	v_add_f64 v[48:49], v[48:49], v[52:53]
	v_mul_f64 v[174:175], v[102:103], s[22:23]
	v_fma_f64 v[134:135], v[56:57], s[34:35], v[134:135]
	v_add_f64 v[150:151], v[6:7], v[150:151]
	v_add_f64 v[152:153], v[4:5], v[152:153]
	v_fma_f64 v[225:226], v[68:69], s[44:45], v[166:167]
	v_add_f64 v[128:129], v[6:7], v[128:129]
	v_mul_f64 v[160:161], v[124:125], s[24:25]
	v_mul_f64 v[162:163], v[112:113], s[26:27]
	;; [unrolled: 1-line block ×5, first 2 shown]
	v_fma_f64 v[52:53], v[64:65], s[8:9], v[138:139]
	v_fma_f64 v[227:228], v[56:57], s[16:17], v[168:169]
	v_fma_f64 v[168:169], v[56:57], s[42:43], v[168:169]
	v_fma_f64 v[231:232], v[70:71], s[10:11], v[207:208]
	v_fma_f64 v[148:149], v[58:59], s[6:7], -v[148:149]
	v_fma_f64 v[233:234], v[58:59], s[18:19], v[209:210]
	v_add_f64 v[136:137], v[4:5], v[136:137]
	v_add_f64 v[221:222], v[6:7], v[221:222]
	;; [unrolled: 1-line block ×3, first 2 shown]
	v_fma_f64 v[209:210], v[58:59], s[18:19], -v[209:210]
	v_add_f64 v[156:157], v[4:5], v[156:157]
	v_add_f64 v[46:47], v[46:47], v[50:51]
	v_add_f64 v[44:45], v[44:45], v[48:49]
	v_add_f64 v[150:151], v[187:188], v[150:151]
	v_add_f64 v[152:153], v[189:190], v[152:153]
	v_mul_f64 v[183:184], v[100:101], s[6:7]
	v_add_f64 v[223:224], v[4:5], v[223:224]
	v_fma_f64 v[166:167], v[68:69], s[26:27], v[166:167]
	v_fma_f64 v[130:131], v[60:61], s[20:21], v[130:131]
	v_add_f64 v[128:129], v[134:135], v[128:129]
	v_add_f64 v[134:135], v[6:7], v[225:226]
	v_mul_f64 v[211:212], v[122:123], s[42:43]
	v_mul_f64 v[215:216], v[96:97], s[36:37]
	;; [unrolled: 1-line block ×3, first 2 shown]
	v_fma_f64 v[54:55], v[72:73], s[44:45], v[160:161]
	v_fma_f64 v[189:190], v[74:75], s[24:25], v[162:163]
	;; [unrolled: 1-line block ×5, first 2 shown]
	v_fma_f64 v[48:49], v[62:63], s[10:11], -v[181:182]
	v_add_f64 v[136:137], v[148:149], v[136:137]
	v_add_f64 v[148:149], v[227:228], v[221:222]
	v_add_f64 v[144:145], v[168:169], v[144:145]
	v_add_f64 v[156:157], v[209:210], v[156:157]
	v_add_f64 v[38:39], v[38:39], v[46:47]
	v_add_f64 v[150:151], v[217:218], v[150:151]
	v_add_f64 v[152:153], v[219:220], v[152:153]
	v_fma_f64 v[217:218], v[66:67], s[24:25], v[172:173]
	v_fma_f64 v[219:220], v[56:57], s[20:21], v[174:175]
	v_add_f64 v[36:37], v[36:37], v[44:45]
	v_mul_f64 v[195:196], v[114:115], s[18:19]
	v_fma_f64 v[132:133], v[62:63], s[22:23], -v[132:133]
	v_fma_f64 v[50:51], v[56:57], s[38:39], v[174:175]
	v_add_f64 v[174:175], v[233:234], v[223:224]
	v_fma_f64 v[168:169], v[60:61], s[4:5], v[183:184]
	v_fma_f64 v[138:139], v[64:65], s[40:41], v[138:139]
	v_add_f64 v[46:47], v[6:7], v[166:167]
	v_add_f64 v[128:129], v[130:131], v[128:129]
	v_mul_f64 v[197:198], v[96:97], s[16:17]
	v_mul_f64 v[203:204], v[92:93], s[18:19]
	;; [unrolled: 1-line block ×6, first 2 shown]
	v_add_f64 v[144:145], v[170:171], v[144:145]
	v_add_f64 v[48:49], v[48:49], v[156:157]
	v_fma_f64 v[156:157], v[62:63], s[6:7], v[187:188]
	v_add_f64 v[52:53], v[52:53], v[150:151]
	v_add_f64 v[150:151], v[231:232], v[152:153]
	v_fma_f64 v[152:153], v[66:67], s[24:25], -v[172:173]
	v_fma_f64 v[172:173], v[58:59], s[22:23], v[213:214]
	v_add_f64 v[181:182], v[4:5], v[217:218]
	v_add_f64 v[130:131], v[219:220], v[134:135]
	v_fma_f64 v[217:218], v[80:81], s[18:19], v[211:212]
	v_add_f64 v[134:135], v[235:236], v[148:149]
	v_fma_f64 v[148:149], v[70:71], s[28:29], -v[215:216]
	v_fma_f64 v[170:171], v[58:59], s[22:23], -v[213:214]
	v_add_f64 v[42:43], v[42:43], v[38:39]
	v_add_f64 v[40:41], v[40:41], v[36:37]
	;; [unrolled: 1-line block ×4, first 2 shown]
	v_fma_f64 v[174:175], v[64:65], s[42:43], v[195:196]
	v_add_f64 v[46:47], v[50:51], v[46:47]
	v_add_f64 v[50:51], v[138:139], v[128:129]
	v_fma_f64 v[209:210], v[64:65], s[30:31], v[185:186]
	v_fma_f64 v[185:186], v[64:65], s[36:37], v[185:186]
	v_fma_f64 v[207:208], v[70:71], s[10:11], -v[207:208]
	v_fma_f64 v[44:45], v[70:71], s[28:29], v[215:216]
	v_mul_f64 v[92:93], v[92:93], s[10:11]
	v_add_f64 v[52:53], v[54:55], v[52:53]
	v_add_f64 v[54:55], v[189:190], v[150:151]
	v_mul_f64 v[150:151], v[112:113], s[34:35]
	v_add_f64 v[152:153], v[4:5], v[152:153]
	v_add_f64 v[166:167], v[172:173], v[181:182]
	;; [unrolled: 1-line block ×3, first 2 shown]
	v_fma_f64 v[168:169], v[72:73], s[30:31], v[205:206]
	v_mul_f64 v[140:141], v[66:67], s[6:7]
	v_add_f64 v[48:49], v[148:149], v[48:49]
	v_mul_f64 v[154:155], v[102:103], s[10:11]
	v_add_f64 v[34:35], v[34:35], v[42:43]
	v_add_f64 v[32:33], v[32:33], v[40:41]
	v_mul_f64 v[40:41], v[102:103], s[28:29]
	v_fma_f64 v[42:43], v[68:69], s[42:43], v[203:204]
	v_mul_f64 v[102:103], v[102:103], s[24:25]
	v_add_f64 v[88:89], v[88:89], v[142:143]
	v_mul_f64 v[146:147], v[58:59], s[10:11]
	v_mul_f64 v[191:192], v[100:101], s[18:19]
	;; [unrolled: 1-line block ×3, first 2 shown]
	v_add_f64 v[130:131], v[207:208], v[132:133]
	v_add_f64 v[132:133], v[209:210], v[134:135]
	;; [unrolled: 1-line block ×5, first 2 shown]
	v_fma_f64 v[54:55], v[74:75], s[6:7], v[150:151]
	v_add_f64 v[148:149], v[170:171], v[152:153]
	v_add_f64 v[138:139], v[156:157], v[166:167]
	v_fma_f64 v[152:153], v[70:71], s[18:19], v[197:198]
	v_fma_f64 v[150:151], v[74:75], s[6:7], -v[150:151]
	v_fma_f64 v[156:157], v[62:63], s[6:7], -v[187:188]
	v_add_f64 v[128:129], v[174:175], v[128:129]
	v_fma_f64 v[174:175], v[68:69], s[16:17], v[203:204]
	v_fma_f64 v[136:137], v[72:73], s[34:35], v[193:194]
	v_add_f64 v[28:29], v[28:29], v[32:33]
	v_mul_f64 v[32:33], v[122:123], s[40:41]
	v_add_f64 v[42:43], v[6:7], v[42:43]
	v_mul_f64 v[144:145], v[112:113], s[36:37]
	v_add_f64 v[30:31], v[30:31], v[34:35]
	v_add_f64 v[98:99], v[98:99], v[154:155]
	;; [unrolled: 1-line block ×3, first 2 shown]
	v_mul_f64 v[164:165], v[126:127], s[18:19]
	v_add_f64 v[94:95], v[146:147], -v[94:95]
	v_mul_f64 v[146:147], v[86:87], s[44:45]
	v_mul_f64 v[201:202], v[114:115], s[24:25]
	v_fma_f64 v[162:163], v[74:75], s[24:25], -v[162:163]
	v_add_f64 v[106:107], v[106:107], v[191:192]
	v_mul_f64 v[199:200], v[70:71], s[24:25]
	v_fma_f64 v[160:161], v[72:73], s[26:27], v[160:161]
	v_add_f64 v[90:91], v[158:159], -v[90:91]
	v_add_f64 v[138:139], v[152:153], v[138:139]
	v_add_f64 v[48:49], v[150:151], v[48:49]
	v_fma_f64 v[150:151], v[70:71], s[18:19], -v[197:198]
	v_add_f64 v[148:149], v[156:157], v[148:149]
	v_mul_f64 v[152:153], v[100:101], s[24:25]
	v_fma_f64 v[156:157], v[56:57], s[36:37], v[40:41]
	v_add_f64 v[128:129], v[168:169], v[128:129]
	v_mul_f64 v[168:169], v[84:85], s[16:17]
	v_mul_f64 v[84:85], v[84:85], s[8:9]
	v_fma_f64 v[40:41], v[56:57], s[30:31], v[40:41]
	v_fma_f64 v[185:186], v[80:81], s[10:11], -v[32:33]
	v_add_f64 v[134:135], v[136:137], v[134:135]
	v_fma_f64 v[136:137], v[74:75], s[28:29], v[144:145]
	v_fma_f64 v[144:145], v[74:75], s[28:29], -v[144:145]
	v_mul_f64 v[100:101], v[100:101], s[28:29]
	v_add_f64 v[88:89], v[98:99], v[88:89]
	v_add_f64 v[26:27], v[26:27], v[30:31]
	;; [unrolled: 1-line block ×3, first 2 shown]
	v_fma_f64 v[229:230], v[76:77], s[16:17], v[164:165]
	v_fma_f64 v[28:29], v[62:63], s[24:25], -v[146:147]
	v_fma_f64 v[172:173], v[60:61], s[34:35], v[183:184]
	v_add_f64 v[130:131], v[162:163], v[130:131]
	v_mul_f64 v[162:163], v[124:125], s[22:23]
	v_add_f64 v[108:109], v[108:109], v[201:202]
	v_add_f64 v[50:51], v[160:161], v[50:51]
	;; [unrolled: 1-line block ×3, first 2 shown]
	v_fma_f64 v[150:151], v[60:61], s[26:27], v[152:153]
	v_add_f64 v[42:43], v[156:157], v[42:43]
	v_add_f64 v[156:157], v[6:7], v[174:175]
	v_fma_f64 v[174:175], v[68:69], s[8:9], v[92:93]
	v_fma_f64 v[142:143], v[66:67], s[18:19], v[168:169]
	v_fma_f64 v[168:169], v[66:67], s[18:19], -v[168:169]
	v_fma_f64 v[68:69], v[68:69], s[40:41], v[92:93]
	v_fma_f64 v[92:93], v[66:67], s[10:11], v[84:85]
	v_fma_f64 v[66:67], v[66:67], s[10:11], -v[84:85]
	v_fma_f64 v[84:85], v[80:81], s[10:11], v[32:33]
	v_add_f64 v[32:33], v[140:141], -v[82:83]
	v_mul_f64 v[82:83], v[78:79], s[26:27]
	v_mul_f64 v[78:79], v[78:79], s[30:31]
	v_fma_f64 v[152:153], v[60:61], s[44:45], v[152:153]
	v_fma_f64 v[98:99], v[60:61], s[30:31], v[100:101]
	;; [unrolled: 1-line block ×3, first 2 shown]
	v_add_f64 v[88:89], v[106:107], v[88:89]
	v_add_f64 v[22:23], v[22:23], v[26:27]
	;; [unrolled: 1-line block ×4, first 2 shown]
	v_fma_f64 v[52:53], v[72:73], s[4:5], v[193:194]
	v_add_f64 v[140:141], v[144:145], v[148:149]
	v_mul_f64 v[144:145], v[114:115], s[6:7]
	v_add_f64 v[42:43], v[150:151], v[42:43]
	v_add_f64 v[40:41], v[40:41], v[156:157]
	v_fma_f64 v[150:151], v[56:57], s[26:27], v[102:103]
	v_add_f64 v[156:157], v[6:7], v[174:175]
	v_add_f64 v[142:143], v[4:5], v[142:143]
	;; [unrolled: 1-line block ×4, first 2 shown]
	v_mul_f64 v[68:69], v[86:87], s[30:31]
	v_add_f64 v[86:87], v[4:5], v[92:93]
	v_add_f64 v[66:67], v[4:5], v[66:67]
	;; [unrolled: 1-line block ×3, first 2 shown]
	v_fma_f64 v[32:33], v[58:59], s[24:25], -v[82:83]
	v_fma_f64 v[92:93], v[58:59], s[28:29], -v[78:79]
	v_fma_f64 v[78:79], v[58:59], s[28:29], v[78:79]
	v_fma_f64 v[56:57], v[56:57], s[44:45], v[102:103]
	;; [unrolled: 1-line block ×3, first 2 shown]
	v_mul_f64 v[114:115], v[114:115], s[22:23]
	v_mul_f64 v[160:161], v[74:75], s[22:23]
	;; [unrolled: 1-line block ×3, first 2 shown]
	v_add_f64 v[104:105], v[199:200], -v[104:105]
	v_mul_f64 v[174:175], v[112:113], s[8:9]
	v_fma_f64 v[166:167], v[64:65], s[16:17], v[195:196]
	v_add_f64 v[46:47], v[172:173], v[46:47]
	v_add_f64 v[40:41], v[152:153], v[40:41]
	v_fma_f64 v[102:103], v[64:65], s[4:5], v[144:145]
	v_add_f64 v[150:151], v[150:151], v[156:157]
	v_mul_f64 v[156:157], v[96:97], s[34:35]
	v_mul_f64 v[96:97], v[96:97], s[38:39]
	v_add_f64 v[88:89], v[108:109], v[88:89]
	v_fma_f64 v[30:31], v[62:63], s[28:29], -v[68:69]
	v_add_f64 v[18:19], v[18:19], v[22:23]
	v_add_f64 v[16:17], v[16:17], v[20:21]
	;; [unrolled: 1-line block ×5, first 2 shown]
	v_fma_f64 v[92:93], v[62:63], s[24:25], v[146:147]
	v_add_f64 v[78:79], v[78:79], v[142:143]
	v_add_f64 v[6:7], v[56:57], v[6:7]
	v_fma_f64 v[56:57], v[62:63], s[28:29], v[68:69]
	v_add_f64 v[58:59], v[58:59], v[86:87]
	v_fma_f64 v[94:95], v[64:65], s[34:35], v[144:145]
	v_mul_f64 v[68:69], v[124:125], s[18:19]
	v_fma_f64 v[100:101], v[64:65], s[38:39], v[114:115]
	v_mul_f64 v[86:87], v[112:113], s[42:43]
	;; [unrolled: 2-line block ×3, first 2 shown]
	v_add_f64 v[52:53], v[52:53], v[132:133]
	v_add_f64 v[98:99], v[98:99], v[150:151]
	v_fma_f64 v[62:63], v[70:71], s[6:7], -v[156:157]
	v_fma_f64 v[112:113], v[70:71], s[22:23], -v[96:97]
	v_mul_f64 v[132:133], v[126:127], s[24:25]
	v_mul_f64 v[172:173], v[126:127], s[28:29]
	;; [unrolled: 1-line block ×4, first 2 shown]
	v_add_f64 v[4:5], v[90:91], v[4:5]
	v_add_f64 v[24:25], v[30:31], v[32:33]
	;; [unrolled: 1-line block ×3, first 2 shown]
	v_fma_f64 v[28:29], v[70:71], s[6:7], v[156:157]
	v_add_f64 v[30:31], v[92:93], v[78:79]
	v_add_f64 v[6:7], v[60:61], v[6:7]
	v_fma_f64 v[60:61], v[70:71], s[22:23], v[96:97]
	v_add_f64 v[56:57], v[56:57], v[58:59]
	v_add_f64 v[40:41], v[94:95], v[40:41]
	v_fma_f64 v[78:79], v[72:73], s[42:43], v[68:69]
	v_add_f64 v[94:95], v[120:121], v[162:163]
	v_fma_f64 v[32:33], v[72:73], s[8:9], v[154:155]
	v_add_f64 v[96:97], v[160:161], -v[116:117]
	v_mul_f64 v[66:67], v[126:127], s[6:7]
	v_mul_f64 v[70:71], v[122:123], s[34:35]
	v_add_f64 v[90:91], v[100:101], v[98:99]
	v_fma_f64 v[92:93], v[74:75], s[18:19], -v[86:87]
	v_fma_f64 v[58:59], v[74:75], s[10:11], -v[174:175]
	v_fma_f64 v[181:182], v[72:73], s[36:37], v[205:206]
	v_add_f64 v[46:47], v[166:167], v[46:47]
	v_mul_f64 v[166:167], v[126:127], s[10:11]
	v_add_f64 v[44:45], v[54:55], v[44:45]
	v_add_f64 v[4:5], v[104:105], v[4:5]
	;; [unrolled: 1-line block ×4, first 2 shown]
	v_mul_f64 v[54:55], v[122:123], s[26:27]
	v_fma_f64 v[24:25], v[72:73], s[40:41], v[154:155]
	v_add_f64 v[26:27], v[102:103], v[42:43]
	v_fma_f64 v[42:43], v[74:75], s[10:11], v[174:175]
	v_add_f64 v[28:29], v[28:29], v[30:31]
	;; [unrolled: 2-line block ×4, first 2 shown]
	v_add_f64 v[16:17], v[12:13], v[16:17]
	v_fma_f64 v[34:35], v[76:77], s[44:45], v[132:133]
	v_fma_f64 v[60:61], v[76:77], s[20:21], v[148:149]
	v_add_f64 v[68:69], v[78:79], v[90:91]
	v_add_f64 v[78:79], v[94:95], v[88:89]
	;; [unrolled: 1-line block ×5, first 2 shown]
	v_add_f64 v[86:87], v[170:171], -v[110:111]
	v_fma_f64 v[64:65], v[76:77], s[34:35], v[66:67]
	v_add_f64 v[90:91], v[96:97], v[4:5]
	v_fma_f64 v[72:73], v[80:81], s[6:7], -v[70:71]
	v_add_f64 v[20:21], v[92:93], v[20:21]
	v_fma_f64 v[40:41], v[80:81], s[22:23], -v[82:83]
	v_add_f64 v[58:59], v[58:59], v[22:23]
	v_add_f64 v[46:47], v[181:182], v[46:47]
	v_fma_f64 v[181:182], v[76:77], s[8:9], v[166:167]
	v_fma_f64 v[166:167], v[76:77], s[40:41], v[166:167]
	v_add_f64 v[136:137], v[136:137], v[138:139]
	v_fma_f64 v[138:139], v[80:81], s[24:25], v[54:55]
	v_fma_f64 v[132:133], v[76:77], s[26:27], v[132:133]
	v_fma_f64 v[54:55], v[80:81], s[24:25], -v[54:55]
	v_fma_f64 v[164:165], v[76:77], s[42:43], v[164:165]
	v_fma_f64 v[183:184], v[80:81], s[18:19], -v[211:212]
	v_fma_f64 v[92:93], v[76:77], s[38:39], v[148:149]
	v_add_f64 v[94:95], v[24:25], v[26:27]
	v_fma_f64 v[82:83], v[80:81], s[22:23], v[82:83]
	v_add_f64 v[96:97], v[42:43], v[28:29]
	;; [unrolled: 2-line block ×4, first 2 shown]
	v_add_f64 v[10:11], v[10:11], v[88:89]
	v_add_f64 v[8:9], v[8:9], v[16:17]
	;; [unrolled: 1-line block ×22, first 2 shown]
	v_mov_b32_e32 v52, 4
	v_lshlrev_b32_sdwa v52, v52, v247 dst_sel:DWORD dst_unused:UNUSED_PAD src0_sel:DWORD src1_sel:WORD_0
	ds_write_b128 v52, v[8:11]
	ds_write_b128 v52, v[32:35] offset:16
	ds_write_b128 v52, v[28:31] offset:32
	;; [unrolled: 1-line block ×12, first 2 shown]
.LBB0_7:
	s_or_b32 exec_lo, exec_lo, s33
	v_and_b32_e32 v4, 0xff, v177
	v_add_co_u32 v37, null, 0x9c, v177
	v_mov_b32_e32 v5, 0x4ec5
	v_add_co_u32 v38, null, 0x138, v177
	v_mul_lo_u16 v6, 0x4f, v4
	v_mov_b32_e32 v36, 4
	v_mul_u32_u24_sdwa v7, v37, v5 dst_sel:DWORD dst_unused:UNUSED_PAD src0_sel:WORD_0 src1_sel:DWORD
	v_mul_u32_u24_sdwa v8, v38, v5 dst_sel:DWORD dst_unused:UNUSED_PAD src0_sel:WORD_0 src1_sel:DWORD
	s_load_dwordx4 s[4:7], s[2:3], 0x0
	v_lshrrev_b16 v39, 10, v6
	v_add_co_u32 v6, null, 0x1d4, v177
	v_lshrrev_b32_e32 v40, 18, v7
	v_lshrrev_b32_e32 v89, 18, v8
	v_mul_lo_u16 v7, v39, 13
	v_mul_u32_u24_sdwa v5, v6, v5 dst_sel:DWORD dst_unused:UNUSED_PAD src0_sel:WORD_0 src1_sel:DWORD
	s_waitcnt lgkmcnt(0)
	v_mul_lo_u16 v8, v40, 13
	v_mul_lo_u16 v9, v89, 13
	v_sub_nc_u16 v7, v177, v7
	v_lshrrev_b32_e32 v5, 18, v5
	s_barrier
	v_sub_nc_u16 v90, v37, v8
	v_sub_nc_u16 v91, v38, v9
	v_and_b32_e32 v7, 0xff, v7
	v_mul_lo_u16 v8, v5, 13
	buffer_gl0_inv
	v_lshlrev_b16 v9, 1, v90
	v_lshlrev_b16 v12, 1, v91
	v_lshlrev_b32_e32 v10, 5, v7
	v_sub_nc_u16 v6, v6, v8
	v_mov_b32_e32 v41, 0xa41b
	v_lshlrev_b32_sdwa v13, v36, v9 dst_sel:DWORD dst_unused:UNUSED_PAD src0_sel:DWORD src1_sel:WORD_0
	s_clause 0x1
	global_load_dwordx4 v[20:23], v10, s[0:1]
	global_load_dwordx4 v[248:251], v10, s[0:1] offset:16
	v_lshlrev_b16 v16, 1, v6
	s_clause 0x1
	global_load_dwordx4 v[24:27], v13, s[0:1]
	global_load_dwordx4 v[8:11], v13, s[0:1] offset:16
	v_lshlrev_b32_sdwa v28, v36, v12 dst_sel:DWORD dst_unused:UNUSED_PAD src0_sel:DWORD src1_sel:WORD_0
	v_lshlrev_b32_sdwa v179, v36, v177 dst_sel:DWORD dst_unused:UNUSED_PAD src0_sel:DWORD src1_sel:WORD_0
	;; [unrolled: 1-line block ×3, first 2 shown]
	s_clause 0x3
	global_load_dwordx4 v[12:15], v28, s[0:1]
	global_load_dwordx4 v[182:185], v28, s[0:1] offset:16
	global_load_dwordx4 v[32:35], v29, s[0:1]
	global_load_dwordx4 v[28:31], v29, s[0:1] offset:16
	v_mul_u32_u24_sdwa v73, v37, v41 dst_sel:DWORD dst_unused:UNUSED_PAD src0_sel:WORD_0 src1_sel:DWORD
	v_mul_u32_u24_sdwa v74, v38, v41 dst_sel:DWORD dst_unused:UNUSED_PAD src0_sel:WORD_0 src1_sel:DWORD
	ds_read_b128 v[41:44], v179
	ds_read_b128 v[45:48], v179 offset:2496
	ds_read_b128 v[49:52], v179 offset:9984
	;; [unrolled: 1-line block ×7, first 2 shown]
	v_mul_lo_u16 v4, 0xa5, v4
	v_mov_b32_e32 v92, 39
	v_lshrrev_b32_e32 v93, 16, v73
	v_lshrrev_b32_e32 v94, 16, v74
	ds_read_b128 v[73:76], v179 offset:14976
	ds_read_b128 v[77:80], v179 offset:17472
	;; [unrolled: 1-line block ×4, first 2 shown]
	v_lshrrev_b16 v4, 8, v4
	v_sub_nc_u16 v96, v37, v93
	v_sub_nc_u16 v97, v38, v94
	v_mul_u32_u24_sdwa v39, v39, v92 dst_sel:DWORD dst_unused:UNUSED_PAD src0_sel:WORD_0 src1_sel:DWORD
	v_mad_u16 v40, v40, 39, v90
	v_sub_nc_u16 v95, v177, v4
	v_mad_u16 v121, v89, 39, v91
	v_mad_u16 v5, v5, 39, v6
	v_add_lshl_u32 v180, v39, v7, 4
	v_lshlrev_b32_sdwa v187, v36, v40 dst_sel:DWORD dst_unused:UNUSED_PAD src0_sel:DWORD src1_sel:WORD_0
	v_lshrrev_b16 v92, 1, v95
	v_lshrrev_b16 v95, 1, v96
	;; [unrolled: 1-line block ×3, first 2 shown]
	v_lshlrev_b32_sdwa v186, v36, v5 dst_sel:DWORD dst_unused:UNUSED_PAD src0_sel:DWORD src1_sel:WORD_0
	v_lshlrev_b32_sdwa v252, v36, v121 dst_sel:DWORD dst_unused:UNUSED_PAD src0_sel:DWORD src1_sel:WORD_0
	v_and_b32_e32 v6, 0x7f, v92
	v_add_nc_u16 v122, v95, v93
	v_add_nc_u16 v123, v96, v94
	s_mov_b32 s2, 0xe8584caa
	s_mov_b32 s3, 0x3febb67a
	v_add_nc_u16 v4, v6, v4
	v_lshrrev_b16 v39, 5, v122
	v_lshrrev_b16 v40, 5, v123
	s_mov_b32 s9, 0xbfebb67a
	s_mov_b32 s8, s2
	v_lshrrev_b16 v4, 5, v4
	v_mul_lo_u16 v5, v39, 39
	v_mul_lo_u16 v6, v40, 39
	v_lshlrev_b32_e32 v181, 4, v177
	v_and_b32_e32 v4, 7, v4
	v_sub_nc_u16 v5, v37, v5
	v_sub_nc_u16 v6, v38, v6
	v_mul_lo_u16 v7, v4, 39
	v_mul_lo_u16 v127, v5, 48
	;; [unrolled: 1-line block ×3, first 2 shown]
	v_mad_u16 v5, 0x9c, v39, v5
	v_mad_u16 v6, 0x9c, v40, v6
	v_sub_nc_u16 v7, v177, v7
	v_lshlrev_b32_sdwa v253, v36, v5 dst_sel:DWORD dst_unused:UNUSED_PAD src0_sel:DWORD src1_sel:WORD_0
	v_lshlrev_b32_sdwa v188, v36, v6 dst_sel:DWORD dst_unused:UNUSED_PAD src0_sel:DWORD src1_sel:WORD_0
	v_and_b32_e32 v7, 0xff, v7
	s_waitcnt vmcnt(7) lgkmcnt(9)
	v_mul_f64 v[89:90], v[51:52], v[22:23]
	s_waitcnt vmcnt(6) lgkmcnt(7)
	v_mul_f64 v[91:92], v[59:60], v[250:251]
	v_mul_f64 v[93:94], v[49:50], v[22:23]
	v_mul_f64 v[95:96], v[57:58], v[250:251]
	s_waitcnt vmcnt(4) lgkmcnt(6)
	v_mul_f64 v[99:100], v[63:64], v[10:11]
	v_mul_f64 v[103:104], v[61:62], v[10:11]
	;; [unrolled: 4-line block ×4, first 2 shown]
	s_waitcnt vmcnt(1)
	v_mul_f64 v[113:114], v[79:80], v[34:35]
	s_waitcnt vmcnt(0) lgkmcnt(0)
	v_mul_f64 v[115:116], v[87:88], v[30:31]
	v_mul_f64 v[117:118], v[77:78], v[34:35]
	;; [unrolled: 1-line block ×3, first 2 shown]
	v_fma_f64 v[49:50], v[49:50], v[20:21], -v[89:90]
	v_fma_f64 v[57:58], v[57:58], v[248:249], -v[91:92]
	v_fma_f64 v[51:52], v[51:52], v[20:21], v[93:94]
	v_fma_f64 v[59:60], v[59:60], v[248:249], v[95:96]
	v_fma_f64 v[61:62], v[61:62], v[8:9], -v[99:100]
	buffer_store_dword v8, off, s[48:51], 0 ; 4-byte Folded Spill
	buffer_store_dword v9, off, s[48:51], 0 offset:4 ; 4-byte Folded Spill
	buffer_store_dword v10, off, s[48:51], 0 offset:8 ; 4-byte Folded Spill
	;; [unrolled: 1-line block ×3, first 2 shown]
	v_fma_f64 v[53:54], v[53:54], v[24:25], -v[97:98]
	v_fma_f64 v[73:74], v[73:74], v[12:13], -v[105:106]
	buffer_store_dword v12, off, s[48:51], 0 offset:16 ; 4-byte Folded Spill
	buffer_store_dword v13, off, s[48:51], 0 offset:20 ; 4-byte Folded Spill
	;; [unrolled: 1-line block ×4, first 2 shown]
	v_fma_f64 v[55:56], v[55:56], v[24:25], v[101:102]
	v_fma_f64 v[81:82], v[81:82], v[182:183], -v[107:108]
	v_fma_f64 v[83:84], v[83:84], v[182:183], v[111:112]
	v_fma_f64 v[77:78], v[77:78], v[32:33], -v[113:114]
	v_fma_f64 v[85:86], v[85:86], v[28:29], -v[115:116]
	v_fma_f64 v[79:80], v[79:80], v[32:33], v[117:118]
	v_fma_f64 v[87:88], v[87:88], v[28:29], v[119:120]
	s_waitcnt_vscnt null, 0x0
	s_barrier
	buffer_gl0_inv
	v_add_f64 v[97:98], v[41:42], v[49:50]
	v_add_f64 v[37:38], v[49:50], v[57:58]
	v_add_f64 v[107:108], v[49:50], -v[57:58]
	v_add_f64 v[89:90], v[51:52], v[59:60]
	v_add_f64 v[101:102], v[51:52], -v[59:60]
	v_add_f64 v[51:52], v[43:44], v[51:52]
	v_add_f64 v[91:92], v[53:54], v[61:62]
	;; [unrolled: 1-line block ×3, first 2 shown]
	v_add_f64 v[121:122], v[53:54], -v[61:62]
	v_add_f64 v[111:112], v[65:66], v[73:74]
	v_add_f64 v[95:96], v[73:74], v[81:82]
	v_add_f64 v[123:124], v[73:74], -v[81:82]
	v_add_f64 v[115:116], v[69:70], v[77:78]
	v_add_f64 v[117:118], v[71:72], v[79:80]
	;; [unrolled: 1-line block ×3, first 2 shown]
	v_add_f64 v[125:126], v[79:80], -v[87:88]
	v_fma_f64 v[37:38], v[37:38], -0.5, v[41:42]
	v_add_f64 v[41:42], v[97:98], v[57:58]
	v_fma_f64 v[89:90], v[89:90], -0.5, v[43:44]
	v_add_f64 v[43:44], v[51:52], v[59:60]
	;; [unrolled: 2-line block ×3, first 2 shown]
	v_add_f64 v[49:50], v[111:112], v[81:82]
	v_fma_f64 v[95:96], v[95:96], -0.5, v[65:66]
	v_add_f64 v[53:54], v[115:116], v[85:86]
	v_fma_f64 v[97:98], v[105:106], -0.5, v[71:72]
	v_fma_f64 v[57:58], v[101:102], s[2:3], v[37:38]
	v_fma_f64 v[61:62], v[101:102], s[8:9], v[37:38]
	;; [unrolled: 1-line block ×3, first 2 shown]
	v_and_b32_e32 v37, 0xffff, v127
	v_add_co_u32 v37, s10, s0, v37
	v_add_co_ci_u32_e64 v38, null, s1, 0, s10
	v_fma_f64 v[63:64], v[63:64], v[8:9], v[103:104]
	v_add_f64 v[103:104], v[77:78], v[85:86]
	v_fma_f64 v[75:76], v[75:76], v[12:13], v[109:110]
	v_add_f64 v[109:110], v[47:48], v[55:56]
	v_add_f64 v[93:94], v[55:56], v[63:64]
	v_add_f64 v[119:120], v[55:56], -v[63:64]
	v_fma_f64 v[103:104], v[103:104], -0.5, v[69:70]
	v_add_f64 v[99:100], v[75:76], v[83:84]
	v_add_f64 v[113:114], v[67:68], v[75:76]
	v_add_f64 v[75:76], v[75:76], -v[83:84]
	v_add_f64 v[55:56], v[117:118], v[87:88]
	v_fma_f64 v[93:94], v[93:94], -0.5, v[47:48]
	v_add_f64 v[47:48], v[109:110], v[63:64]
	v_fma_f64 v[63:64], v[107:108], s[2:3], v[89:90]
	v_fma_f64 v[79:80], v[99:100], -0.5, v[67:68]
	v_add_f64 v[99:100], v[77:78], -v[85:86]
	v_fma_f64 v[65:66], v[119:120], s[2:3], v[91:92]
	v_fma_f64 v[69:70], v[119:120], s[8:9], v[91:92]
	v_add_f64 v[51:52], v[113:114], v[83:84]
	v_fma_f64 v[73:74], v[75:76], s[2:3], v[95:96]
	v_fma_f64 v[77:78], v[75:76], s[8:9], v[95:96]
	;; [unrolled: 1-line block ×4, first 2 shown]
	v_mad_u64_u32 v[89:90], null, v7, 48, s[0:1]
	v_and_b32_e32 v91, 0xffff, v128
	v_fma_f64 v[67:68], v[121:122], s[8:9], v[93:94]
	v_fma_f64 v[71:72], v[121:122], s[2:3], v[93:94]
	;; [unrolled: 1-line block ×6, first 2 shown]
	ds_write_b128 v180, v[41:44]
	ds_write_b128 v180, v[57:60] offset:208
	ds_write_b128 v180, v[61:64] offset:416
	ds_write_b128 v187, v[45:48]
	ds_write_b128 v187, v[65:68] offset:208
	ds_write_b128 v187, v[69:72] offset:416
	;; [unrolled: 3-line block ×4, first 2 shown]
	v_add_co_u32 v41, s10, s0, v91
	s_waitcnt lgkmcnt(0)
	s_barrier
	buffer_gl0_inv
	s_clause 0x3
	global_load_dwordx4 v[68:71], v[89:90], off offset:416
	global_load_dwordx4 v[64:67], v[89:90], off offset:432
	;; [unrolled: 1-line block ×4, first 2 shown]
	v_add_co_ci_u32_e64 v42, null, s1, 0, s10
	s_clause 0x4
	global_load_dwordx4 v[60:63], v[37:38], off offset:432
	global_load_dwordx4 v[48:51], v[37:38], off offset:448
	;; [unrolled: 1-line block ×5, first 2 shown]
	ds_read_b128 v[41:44], v179 offset:7488
	ds_read_b128 v[84:87], v179 offset:14976
	;; [unrolled: 1-line block ×10, first 2 shown]
	ds_read_b128 v[120:123], v179
	ds_read_b128 v[124:127], v179 offset:2496
	s_waitcnt vmcnt(0) lgkmcnt(0)
	s_barrier
	buffer_gl0_inv
	v_mul_f64 v[37:38], v[43:44], v[70:71]
	v_mul_f64 v[45:46], v[41:42], v[70:71]
	;; [unrolled: 1-line block ×18, first 2 shown]
	v_fma_f64 v[37:38], v[41:42], v[68:69], -v[37:38]
	v_fma_f64 v[41:42], v[43:44], v[68:69], v[45:46]
	v_fma_f64 v[43:44], v[84:85], v[64:65], -v[128:129]
	v_fma_f64 v[45:46], v[86:87], v[64:65], v[130:131]
	;; [unrolled: 2-line block ×9, first 2 shown]
	v_mad_u64_u32 v[136:137], null, 0x50, v177, s[0:1]
	v_add_f64 v[112:113], v[120:121], -v[43:44]
	v_add_f64 v[45:46], v[122:123], -v[45:46]
	;; [unrolled: 1-line block ×4, first 2 shown]
	v_add_co_u32 v138, s0, 0x8f0, v136
	v_add_f64 v[114:115], v[124:125], -v[92:93]
	v_add_f64 v[128:129], v[126:127], -v[94:95]
	;; [unrolled: 1-line block ×4, first 2 shown]
	v_add_co_ci_u32_e64 v139, s0, 0, v137, s0
	v_add_f64 v[130:131], v[116:117], -v[104:105]
	v_add_f64 v[132:133], v[118:119], -v[106:107]
	;; [unrolled: 1-line block ×4, first 2 shown]
	v_fma_f64 v[110:111], v[120:121], 2.0, -v[112:113]
	v_fma_f64 v[120:121], v[122:123], 2.0, -v[45:46]
	v_fma_f64 v[37:38], v[37:38], 2.0, -v[43:44]
	v_fma_f64 v[94:95], v[41:42], 2.0, -v[84:85]
	v_add_f64 v[41:42], v[112:113], -v[84:85]
	v_add_f64 v[43:44], v[45:46], v[43:44]
	v_fma_f64 v[122:123], v[124:125], 2.0, -v[114:115]
	v_fma_f64 v[124:125], v[126:127], 2.0, -v[128:129]
	v_fma_f64 v[104:105], v[88:89], 2.0, -v[86:87]
	v_fma_f64 v[106:107], v[90:91], 2.0, -v[92:93]
	v_add_f64 v[84:85], v[114:115], -v[92:93]
	v_add_f64 v[86:87], v[128:129], v[86:87]
	;; [unrolled: 6-line block ×3, first 2 shown]
	v_add_f64 v[88:89], v[110:111], -v[37:38]
	v_add_f64 v[90:91], v[120:121], -v[94:95]
	v_mov_b32_e32 v37, 0x9c
	v_add_f64 v[92:93], v[122:123], -v[104:105]
	v_add_f64 v[94:95], v[124:125], -v[106:107]
	v_fma_f64 v[104:105], v[112:113], 2.0, -v[41:42]
	v_fma_f64 v[106:107], v[45:46], 2.0, -v[43:44]
	v_fma_f64 v[108:109], v[114:115], 2.0, -v[84:85]
	v_mul_u32_u24_sdwa v4, v4, v37 dst_sel:DWORD dst_unused:UNUSED_PAD src0_sel:WORD_0 src1_sel:DWORD
	v_add_f64 v[100:101], v[126:127], -v[100:101]
	v_add_f64 v[102:103], v[134:135], -v[102:103]
	v_add_co_u32 v37, s0, 0x800, v136
	v_add_lshl_u32 v254, v4, v7, 4
	v_add_co_ci_u32_e64 v38, s0, 0, v137, s0
	v_lshlrev_b32_e32 v4, 6, v177
	v_fma_f64 v[112:113], v[110:111], 2.0, -v[88:89]
	v_fma_f64 v[114:115], v[120:121], 2.0, -v[90:91]
	;; [unrolled: 1-line block ×4, first 2 shown]
	v_sub_co_u32 v4, s0, v136, v4
	v_fma_f64 v[116:117], v[122:123], 2.0, -v[92:93]
	v_fma_f64 v[118:119], v[124:125], 2.0, -v[94:95]
	;; [unrolled: 1-line block ×3, first 2 shown]
	v_subrev_co_ci_u32_e64 v5, s0, 0, v137, s0
	v_fma_f64 v[124:125], v[126:127], 2.0, -v[100:101]
	v_fma_f64 v[126:127], v[134:135], 2.0, -v[102:103]
	ds_write_b128 v254, v[41:44] offset:1872
	ds_write_b128 v254, v[104:107] offset:624
	;; [unrolled: 1-line block ×3, first 2 shown]
	ds_write_b128 v254, v[112:115]
	ds_write_b128 v253, v[116:119]
	ds_write_b128 v253, v[108:111] offset:624
	ds_write_b128 v253, v[92:95] offset:1248
	;; [unrolled: 1-line block ×3, first 2 shown]
	ds_write_b128 v188, v[124:127]
	ds_write_b128 v188, v[120:123] offset:624
	ds_write_b128 v188, v[100:103] offset:1248
	;; [unrolled: 1-line block ×3, first 2 shown]
	s_waitcnt lgkmcnt(0)
	s_barrier
	buffer_gl0_inv
	s_clause 0x4
	global_load_dwordx4 v[84:87], v[138:139], off offset:32
	global_load_dwordx4 v[88:91], v[37:38], off offset:304
	;; [unrolled: 1-line block ×5, first 2 shown]
	ds_read_b128 v[92:95], v179 offset:14976
	ds_read_b128 v[96:99], v179 offset:24960
	ds_read_b128 v[100:103], v179 offset:17472
	ds_read_b128 v[104:107], v179 offset:27456
	ds_read_b128 v[108:111], v179 offset:4992
	ds_read_b128 v[112:115], v179 offset:7488
	ds_read_b128 v[116:119], v179 offset:9984
	ds_read_b128 v[120:123], v179 offset:12480
	ds_read_b128 v[124:127], v179 offset:19968
	ds_read_b128 v[128:131], v179 offset:22464
	s_waitcnt vmcnt(4) lgkmcnt(9)
	v_mul_f64 v[132:133], v[94:95], v[86:87]
	v_mul_f64 v[134:135], v[92:93], v[86:87]
	s_waitcnt vmcnt(3) lgkmcnt(8)
	v_mul_f64 v[138:139], v[96:97], v[90:91]
	v_mul_f64 v[140:141], v[98:99], v[90:91]
	s_waitcnt lgkmcnt(7)
	v_mul_f64 v[142:143], v[102:103], v[86:87]
	v_mul_f64 v[144:145], v[100:101], v[86:87]
	s_waitcnt lgkmcnt(6)
	v_mul_f64 v[146:147], v[106:107], v[90:91]
	v_mul_f64 v[148:149], v[104:105], v[90:91]
	s_waitcnt vmcnt(2) lgkmcnt(5)
	v_mul_f64 v[150:151], v[110:111], v[38:39]
	v_mul_f64 v[152:153], v[108:109], v[38:39]
	s_waitcnt lgkmcnt(4)
	v_mul_f64 v[154:155], v[114:115], v[38:39]
	s_waitcnt vmcnt(0) lgkmcnt(0)
	v_mul_f64 v[156:157], v[130:131], v[42:43]
	v_mul_f64 v[158:159], v[128:129], v[42:43]
	v_fma_f64 v[132:133], v[92:93], v[84:85], -v[132:133]
	v_fma_f64 v[134:135], v[94:95], v[84:85], v[134:135]
	v_fma_f64 v[138:139], v[98:99], v[88:89], v[138:139]
	v_fma_f64 v[140:141], v[96:97], v[88:89], -v[140:141]
	v_mul_f64 v[92:93], v[112:113], v[38:39]
	v_fma_f64 v[100:101], v[100:101], v[84:85], -v[142:143]
	v_fma_f64 v[102:103], v[102:103], v[84:85], v[144:145]
	v_fma_f64 v[104:105], v[104:105], v[88:89], -v[146:147]
	v_fma_f64 v[106:107], v[106:107], v[88:89], v[148:149]
	v_mul_f64 v[96:97], v[118:119], v[46:47]
	v_mul_f64 v[98:99], v[116:117], v[46:47]
	;; [unrolled: 1-line block ×5, first 2 shown]
	v_fma_f64 v[108:109], v[108:109], v[36:37], -v[150:151]
	v_fma_f64 v[110:111], v[110:111], v[36:37], v[152:153]
	v_mul_f64 v[148:149], v[120:121], v[46:47]
	v_fma_f64 v[112:113], v[112:113], v[36:37], -v[154:155]
	v_fma_f64 v[128:129], v[128:129], v[40:41], -v[156:157]
	v_fma_f64 v[130:131], v[130:131], v[40:41], v[158:159]
	v_add_co_u32 v156, s0, 0x3800, v4
	v_add_co_ci_u32_e64 v157, s0, 0, v5, s0
	v_add_f64 v[150:151], v[134:135], v[138:139]
	v_add_f64 v[152:153], v[132:133], v[140:141]
	v_fma_f64 v[114:115], v[114:115], v[36:37], v[92:93]
	v_add_f64 v[136:137], v[134:135], -v[138:139]
	ds_read_b128 v[92:95], v179
	v_add_f64 v[154:155], v[100:101], v[104:105]
	v_add_f64 v[160:161], v[102:103], v[106:107]
	v_fma_f64 v[116:117], v[116:117], v[44:45], -v[96:97]
	v_fma_f64 v[118:119], v[118:119], v[44:45], v[98:99]
	ds_read_b128 v[96:99], v179 offset:2496
	v_fma_f64 v[124:125], v[124:125], v[40:41], -v[142:143]
	v_fma_f64 v[126:127], v[126:127], v[40:41], v[144:145]
	v_fma_f64 v[120:121], v[120:121], v[44:45], -v[146:147]
	v_add_f64 v[142:143], v[132:133], -v[140:141]
	v_fma_f64 v[122:123], v[122:123], v[44:45], v[148:149]
	v_add_f64 v[148:149], v[102:103], -v[106:107]
	v_add_co_u32 v158, s0, 0x4000, v4
	v_add_co_ci_u32_e64 v159, s0, 0, v5, s0
	s_waitcnt lgkmcnt(0)
	s_barrier
	v_fma_f64 v[144:145], v[150:151], -0.5, v[110:111]
	v_fma_f64 v[146:147], v[152:153], -0.5, v[108:109]
	v_add_f64 v[150:151], v[100:101], -v[104:105]
	v_add_f64 v[108:109], v[108:109], v[132:133]
	v_add_f64 v[110:111], v[110:111], v[134:135]
	v_fma_f64 v[152:153], v[154:155], -0.5, v[112:113]
	v_fma_f64 v[154:155], v[160:161], -0.5, v[114:115]
	v_add_f64 v[162:163], v[92:93], v[116:117]
	v_add_f64 v[100:101], v[112:113], v[100:101]
	;; [unrolled: 1-line block ×5, first 2 shown]
	v_add_f64 v[166:167], v[118:119], -v[126:127]
	v_add_f64 v[168:169], v[120:121], v[128:129]
	v_add_f64 v[118:119], v[94:95], v[118:119]
	;; [unrolled: 1-line block ×4, first 2 shown]
	v_add_f64 v[116:117], v[116:117], -v[124:125]
	v_add_f64 v[112:113], v[122:123], -v[130:131]
	;; [unrolled: 1-line block ×3, first 2 shown]
	buffer_gl0_inv
	v_fma_f64 v[170:171], v[142:143], s[8:9], v[144:145]
	v_fma_f64 v[172:173], v[136:137], s[8:9], v[146:147]
	;; [unrolled: 1-line block ×4, first 2 shown]
	v_add_f64 v[144:145], v[122:123], v[130:131]
	v_fma_f64 v[174:175], v[148:149], s[8:9], v[152:153]
	v_fma_f64 v[146:147], v[150:151], s[8:9], v[154:155]
	v_fma_f64 v[148:149], v[148:149], s[2:3], v[152:153]
	v_fma_f64 v[150:151], v[150:151], s[2:3], v[154:155]
	v_add_f64 v[120:121], v[162:163], v[124:125]
	v_fma_f64 v[92:93], v[160:161], -0.5, v[92:93]
	v_fma_f64 v[94:95], v[164:165], -0.5, v[94:95]
	v_add_f64 v[108:109], v[108:109], v[140:141]
	v_fma_f64 v[96:97], v[168:169], -0.5, v[96:97]
	v_add_f64 v[118:119], v[118:119], v[126:127]
	v_add_f64 v[110:111], v[110:111], v[138:139]
	;; [unrolled: 1-line block ×6, first 2 shown]
	v_mul_f64 v[122:123], v[170:171], s[2:3]
	v_mul_f64 v[124:125], v[172:173], -0.5
	v_mul_f64 v[152:153], v[136:137], s[8:9]
	v_mul_f64 v[154:155], v[142:143], -0.5
	v_fma_f64 v[98:99], v[144:145], -0.5, v[98:99]
	v_mul_f64 v[144:145], v[174:175], -0.5
	v_mul_f64 v[126:127], v[146:147], s[2:3]
	v_mul_f64 v[160:161], v[148:149], s[8:9]
	v_mul_f64 v[162:163], v[150:151], -0.5
	v_fma_f64 v[132:133], v[166:167], s[2:3], v[92:93]
	v_fma_f64 v[138:139], v[116:117], s[8:9], v[94:95]
	;; [unrolled: 1-line block ×6, first 2 shown]
	v_add_f64 v[92:93], v[120:121], v[108:109]
	v_add_f64 v[94:95], v[118:119], v[110:111]
	v_add_f64 v[96:97], v[120:121], -v[108:109]
	v_add_f64 v[100:101], v[128:129], v[104:105]
	v_add_f64 v[102:103], v[130:131], v[106:107]
	v_add_f64 v[104:105], v[128:129], -v[104:105]
	v_fma_f64 v[116:117], v[136:137], 0.5, v[122:123]
	v_fma_f64 v[122:123], v[142:143], s[2:3], v[124:125]
	v_fma_f64 v[124:125], v[170:171], 0.5, v[152:153]
	v_fma_f64 v[136:137], v[172:173], s[8:9], v[154:155]
	v_fma_f64 v[142:143], v[114:115], s[8:9], v[98:99]
	;; [unrolled: 1-line block ×3, first 2 shown]
	v_fma_f64 v[148:149], v[148:149], 0.5, v[126:127]
	v_fma_f64 v[146:147], v[146:147], 0.5, v[160:161]
	v_fma_f64 v[144:145], v[150:151], s[2:3], v[144:145]
	v_fma_f64 v[150:151], v[174:175], s[8:9], v[162:163]
	v_add_f64 v[98:99], v[118:119], -v[110:111]
	v_add_f64 v[106:107], v[130:131], -v[106:107]
	v_add_co_u32 v154, s0, 0x4800, v4
	v_add_co_ci_u32_e64 v155, s0, 0, v5, s0
	v_add_f64 v[108:109], v[132:133], v[116:117]
	v_add_f64 v[112:113], v[134:135], v[122:123]
	;; [unrolled: 1-line block ×4, first 2 shown]
	v_add_f64 v[116:117], v[132:133], -v[116:117]
	v_add_f64 v[118:119], v[138:139], -v[124:125]
	;; [unrolled: 1-line block ×4, first 2 shown]
	v_add_f64 v[124:125], v[164:165], v[148:149]
	v_add_f64 v[126:127], v[142:143], v[146:147]
	;; [unrolled: 1-line block ×4, first 2 shown]
	v_add_f64 v[132:133], v[164:165], -v[148:149]
	v_add_f64 v[134:135], v[142:143], -v[146:147]
	;; [unrolled: 1-line block ×4, first 2 shown]
	v_add_co_u32 v140, s0, 0x5000, v4
	v_add_co_ci_u32_e64 v141, s0, 0, v5, s0
	v_add_co_u32 v142, s0, 0x6000, v4
	v_add_co_ci_u32_e64 v143, s0, 0, v5, s0
	ds_write_b128 v179, v[92:95]
	ds_write_b128 v179, v[96:99] offset:7488
	ds_write_b128 v179, v[100:103] offset:14976
	;; [unrolled: 1-line block ×11, first 2 shown]
	v_add_co_u32 v108, s0, 0x6800, v4
	v_add_co_ci_u32_e64 v109, s0, 0, v5, s0
	s_waitcnt lgkmcnt(0)
	s_barrier
	buffer_gl0_inv
	s_clause 0x5
	global_load_dwordx4 v[100:103], v[156:157], off offset:432
	global_load_dwordx4 v[96:99], v[158:159], off offset:880
	;; [unrolled: 1-line block ×6, first 2 shown]
	ds_read_b128 v[116:119], v179 offset:14976
	ds_read_b128 v[120:123], v179 offset:17472
	ds_read_b128 v[124:127], v179 offset:19968
	ds_read_b128 v[128:131], v179 offset:22464
	ds_read_b128 v[132:135], v179 offset:24960
	ds_read_b128 v[136:139], v179 offset:27456
	ds_read_b128 v[152:155], v179
	ds_read_b128 v[156:159], v179 offset:2496
	ds_read_b128 v[160:163], v179 offset:4992
	;; [unrolled: 1-line block ×3, first 2 shown]
	s_waitcnt vmcnt(5) lgkmcnt(9)
	v_mul_f64 v[140:141], v[118:119], v[102:103]
	v_mul_f64 v[142:143], v[116:117], v[102:103]
	s_waitcnt vmcnt(4) lgkmcnt(8)
	v_mul_f64 v[144:145], v[122:123], v[98:99]
	v_mul_f64 v[146:147], v[120:121], v[98:99]
	;; [unrolled: 3-line block ×6, first 2 shown]
	v_fma_f64 v[116:117], v[116:117], v[100:101], -v[140:141]
	v_fma_f64 v[118:119], v[118:119], v[100:101], v[142:143]
	v_fma_f64 v[140:141], v[120:121], v[96:97], -v[144:145]
	v_fma_f64 v[142:143], v[122:123], v[96:97], v[146:147]
	;; [unrolled: 2-line block ×6, first 2 shown]
	ds_read_b128 v[168:171], v179 offset:9984
	ds_read_b128 v[172:175], v179 offset:12480
	s_waitcnt lgkmcnt(5)
	v_add_f64 v[120:121], v[152:153], -v[116:117]
	v_add_f64 v[122:123], v[154:155], -v[118:119]
	s_waitcnt lgkmcnt(4)
	v_add_f64 v[124:125], v[156:157], -v[140:141]
	v_add_f64 v[126:127], v[158:159], -v[142:143]
	;; [unrolled: 3-line block ×6, first 2 shown]
	v_fma_f64 v[116:117], v[152:153], 2.0, -v[120:121]
	v_fma_f64 v[118:119], v[154:155], 2.0, -v[122:123]
	;; [unrolled: 1-line block ×12, first 2 shown]
	ds_write_b128 v179, v[120:123] offset:14976
	ds_write_b128 v179, v[124:127] offset:17472
	;; [unrolled: 1-line block ×6, first 2 shown]
	ds_write_b128 v179, v[116:119]
	ds_write_b128 v179, v[128:131] offset:2496
	ds_write_b128 v179, v[136:139] offset:4992
	;; [unrolled: 1-line block ×5, first 2 shown]
	s_waitcnt lgkmcnt(0)
	s_barrier
	buffer_gl0_inv
	s_and_saveexec_b32 s1, vcc_lo
	s_cbranch_execz .LBB0_9
; %bb.8:
	v_add_co_u32 v189, s0, s14, v255
	v_add_co_ci_u32_e64 v190, null, s15, 0, s0
	v_add_co_u32 v164, s0, 0x7000, v189
	v_add_co_ci_u32_e64 v165, s0, 0, v190, s0
	v_add_co_u32 v168, s0, 0x7800, v189
	v_add_co_ci_u32_e64 v169, s0, 0, v190, s0
	global_load_dwordx4 v[164:167], v[164:165], off offset:1280
	v_add_co_u32 v172, s0, 0x8000, v189
	global_load_dwordx4 v[168:171], v[168:169], off offset:1536
	v_add_co_ci_u32_e64 v173, s0, 0, v190, s0
	v_add_co_u32 v191, s0, 0x9000, v189
	v_add_co_ci_u32_e64 v192, s0, 0, v190, s0
	global_load_dwordx4 v[172:175], v[172:173], off offset:1792
	v_add_co_u32 v195, s0, 0x9800, v189
	global_load_dwordx4 v[191:194], v[191:192], off
	v_add_co_ci_u32_e64 v196, s0, 0, v190, s0
	v_add_co_u32 v199, s0, 0xa000, v189
	v_add_co_ci_u32_e64 v200, s0, 0, v190, s0
	global_load_dwordx4 v[195:198], v[195:196], off offset:256
	v_add_co_u32 v203, s0, 0xa800, v189
	global_load_dwordx4 v[199:202], v[199:200], off offset:512
	v_add_co_ci_u32_e64 v204, s0, 0, v190, s0
	v_add_co_u32 v207, s0, 0xb000, v189
	v_add_co_ci_u32_e64 v208, s0, 0, v190, s0
	global_load_dwordx4 v[203:206], v[203:204], off offset:768
	v_add_co_u32 v211, s0, 0xb800, v189
	global_load_dwordx4 v[207:210], v[207:208], off offset:1024
	v_add_co_ci_u32_e64 v212, s0, 0, v190, s0
	v_add_co_u32 v215, s0, 0xc000, v189
	v_add_co_ci_u32_e64 v216, s0, 0, v190, s0
	s_clause 0x1
	global_load_dwordx4 v[211:214], v[211:212], off offset:1280
	global_load_dwordx4 v[215:218], v[215:216], off offset:1536
	v_add_co_u32 v219, s0, 0xc800, v189
	v_add_co_ci_u32_e64 v220, s0, 0, v190, s0
	v_add_co_u32 v223, s0, 0xd800, v189
	v_add_co_ci_u32_e64 v224, s0, 0, v190, s0
	global_load_dwordx4 v[219:222], v[219:220], off offset:1792
	v_add_co_u32 v189, s0, 0xe000, v189
	v_add_co_ci_u32_e64 v190, s0, 0, v190, s0
	s_clause 0x1
	global_load_dwordx4 v[223:226], v[223:224], off
	global_load_dwordx4 v[227:230], v[189:190], off offset:256
	ds_read_b128 v[231:234], v179
	s_waitcnt vmcnt(12) lgkmcnt(0)
	v_mul_f64 v[189:190], v[233:234], v[166:167]
	v_mul_f64 v[166:167], v[231:232], v[166:167]
	v_fma_f64 v[231:232], v[231:232], v[164:165], -v[189:190]
	v_fma_f64 v[233:234], v[233:234], v[164:165], v[166:167]
	ds_write_b128 v179, v[231:234]
	ds_read_b128 v[164:167], v181 offset:2304
	ds_read_b128 v[231:234], v181 offset:4608
	;; [unrolled: 1-line block ×3, first 2 shown]
	s_waitcnt vmcnt(11) lgkmcnt(2)
	v_mul_f64 v[189:190], v[166:167], v[170:171]
	v_mul_f64 v[170:171], v[164:165], v[170:171]
	s_waitcnt vmcnt(10) lgkmcnt(1)
	v_mul_f64 v[239:240], v[233:234], v[174:175]
	v_mul_f64 v[174:175], v[231:232], v[174:175]
	v_fma_f64 v[164:165], v[164:165], v[168:169], -v[189:190]
	v_fma_f64 v[166:167], v[166:167], v[168:169], v[170:171]
	ds_read_b128 v[168:171], v181 offset:9216
	s_waitcnt vmcnt(9) lgkmcnt(1)
	v_mul_f64 v[189:190], v[237:238], v[193:194]
	v_mul_f64 v[193:194], v[235:236], v[193:194]
	v_fma_f64 v[231:232], v[231:232], v[172:173], -v[239:240]
	v_fma_f64 v[233:234], v[233:234], v[172:173], v[174:175]
	ds_read_b128 v[172:175], v181 offset:11520
	;; [unrolled: 6-line block ×8, first 2 shown]
	ds_read_b128 v[239:242], v181 offset:27648
	s_waitcnt vmcnt(2) lgkmcnt(2)
	v_mul_f64 v[245:246], v[207:208], v[221:222]
	v_fma_f64 v[213:214], v[235:236], v[215:216], -v[243:244]
	v_fma_f64 v[215:216], v[237:238], v[215:216], v[217:218]
	v_mul_f64 v[217:218], v[205:206], v[221:222]
	s_waitcnt vmcnt(1) lgkmcnt(1)
	v_mul_f64 v[221:222], v[211:212], v[225:226]
	v_mul_f64 v[225:226], v[209:210], v[225:226]
	s_waitcnt vmcnt(0) lgkmcnt(0)
	v_mul_f64 v[235:236], v[241:242], v[229:230]
	v_fma_f64 v[205:206], v[205:206], v[219:220], -v[245:246]
	v_fma_f64 v[207:208], v[207:208], v[219:220], v[217:218]
	v_mul_f64 v[219:220], v[239:240], v[229:230]
	v_fma_f64 v[209:210], v[209:210], v[223:224], -v[221:222]
	v_fma_f64 v[211:212], v[211:212], v[223:224], v[225:226]
	v_fma_f64 v[217:218], v[239:240], v[227:228], -v[235:236]
	v_fma_f64 v[219:220], v[241:242], v[227:228], v[219:220]
	ds_write_b128 v181, v[164:167] offset:2304
	ds_write_b128 v181, v[231:234] offset:4608
	;; [unrolled: 1-line block ×12, first 2 shown]
.LBB0_9:
	s_or_b32 exec_lo, exec_lo, s1
	s_waitcnt lgkmcnt(0)
	s_barrier
	buffer_gl0_inv
	s_and_saveexec_b32 s0, vcc_lo
	s_cbranch_execz .LBB0_11
; %bb.10:
	ds_read_b128 v[116:119], v179
	ds_read_b128 v[120:123], v179 offset:2304
	ds_read_b128 v[128:131], v179 offset:4608
	;; [unrolled: 1-line block ×12, first 2 shown]
.LBB0_11:
	s_or_b32 exec_lo, exec_lo, s0
	s_waitcnt lgkmcnt(0)
	s_barrier
	buffer_gl0_inv
	s_and_saveexec_b32 s33, vcc_lo
	s_cbranch_execz .LBB0_13
; %bb.12:
	v_add_f64 v[164:165], v[118:119], v[122:123]
	v_add_f64 v[166:167], v[116:117], v[120:121]
	v_add_f64 v[189:190], v[124:125], -v[160:161]
	s_mov_b32 s34, 0x66966769
	s_mov_b32 s35, 0x3fefc445
	s_mov_b32 s23, 0xbfefc445
	s_mov_b32 s22, s34
	v_add_f64 v[191:192], v[126:127], -v[162:163]
	v_add_f64 v[193:194], v[128:129], -v[140:141]
	;; [unrolled: 1-line block ×3, first 2 shown]
	v_add_f64 v[197:198], v[142:143], v[130:131]
	v_add_f64 v[199:200], v[140:141], v[128:129]
	s_mov_b32 s0, 0x42a4c3d2
	s_mov_b32 s1, 0x3fea55e2
	;; [unrolled: 1-line block ×6, first 2 shown]
	v_add_f64 v[168:169], v[156:157], -v[148:149]
	v_add_f64 v[170:171], v[150:151], v[158:159]
	v_add_f64 v[172:173], v[136:137], -v[144:145]
	v_add_f64 v[174:175], v[138:139], v[146:147]
	v_add_f64 v[164:165], v[130:131], v[164:165]
	;; [unrolled: 1-line block ×3, first 2 shown]
	s_mov_b32 s37, 0x3fddbe06
	s_mov_b32 s36, 0x4267c47c
	s_mov_b32 s30, 0x2ef20147
	s_mov_b32 s28, 0x4bc48dbf
	s_mov_b32 s24, 0x24c2f84
	s_mov_b32 s31, 0xbfedeba7
	s_mov_b32 s29, 0xbfcea1e5
	s_mov_b32 s25, 0xbfe5384d
	s_mov_b32 s20, 0xb2365da1
	s_mov_b32 s2, 0x93053d00
	s_mov_b32 s10, 0xd0032e0c
	s_mov_b32 s16, 0xe00740e9
	s_mov_b32 s21, 0xbfd6b1d8
	s_mov_b32 s3, 0xbfef11f4
	s_mov_b32 s11, 0xbfe7f3cc
	s_mov_b32 s17, 0x3fec55a7
	v_mul_f64 v[205:206], v[168:169], s[36:37]
	v_mov_b32_e32 v14, v248
	v_mul_f64 v[201:202], v[172:173], s[36:37]
	v_mov_b32_e32 v15, v249
	v_add_f64 v[164:165], v[126:127], v[164:165]
	v_add_f64 v[166:167], v[124:125], v[166:167]
	v_mov_b32_e32 v16, v250
	v_mov_b32_e32 v17, v251
	;; [unrolled: 1-line block ×7, first 2 shown]
	s_mov_b32 s39, 0x3fe5384d
	s_mov_b32 s38, s24
	v_mov_b32_e32 v8, v176
	v_mov_b32_e32 v9, v177
	;; [unrolled: 1-line block ×4, first 2 shown]
	v_add_f64 v[164:165], v[138:139], v[164:165]
	v_add_f64 v[166:167], v[136:137], v[166:167]
	;; [unrolled: 1-line block ×9, first 2 shown]
	v_add_f64 v[150:151], v[158:159], -v[150:151]
	v_add_f64 v[156:157], v[132:133], -v[152:153]
	v_add_f64 v[158:159], v[154:155], v[134:135]
	v_add_f64 v[164:165], v[154:155], v[164:165]
	v_add_f64 v[166:167], v[152:153], v[166:167]
	v_add_f64 v[154:155], v[134:135], -v[154:155]
	v_add_f64 v[152:153], v[152:153], v[132:133]
	v_mul_f64 v[132:133], v[193:194], s[36:37]
	v_mul_f64 v[134:135], v[195:196], s[36:37]
	;; [unrolled: 1-line block ×3, first 2 shown]
	v_add_f64 v[164:165], v[146:147], v[164:165]
	v_add_f64 v[166:167], v[144:145], v[166:167]
	v_add_f64 v[146:147], v[138:139], -v[146:147]
	v_add_f64 v[144:145], v[136:137], v[144:145]
	v_mul_f64 v[136:137], v[156:157], s[36:37]
	v_mul_f64 v[138:139], v[154:155], s[36:37]
	v_add_f64 v[164:165], v[162:163], v[164:165]
	v_add_f64 v[166:167], v[160:161], v[166:167]
	;; [unrolled: 1-line block ×3, first 2 shown]
	v_add_f64 v[124:125], v[120:121], -v[0:1]
	v_add_f64 v[162:163], v[126:127], v[162:163]
	v_add_f64 v[126:127], v[122:123], -v[2:3]
	v_add_f64 v[122:123], v[2:3], v[122:123]
	v_add_f64 v[120:121], v[0:1], v[120:121]
	v_mul_f64 v[203:204], v[146:147], s[36:37]
	v_add_f64 v[128:129], v[142:143], v[164:165]
	v_add_f64 v[130:131], v[140:141], v[166:167]
	v_mul_f64 v[164:165], v[189:190], s[36:37]
	v_mul_f64 v[142:143], v[124:125], s[22:23]
	v_mul_f64 v[209:210], v[124:125], s[26:27]
	v_mul_f64 v[227:228], v[126:127], s[22:23]
	v_mul_f64 v[229:230], v[126:127], s[26:27]
	v_mul_f64 v[166:167], v[191:192], s[36:37]
	s_mov_b32 s37, 0xbfddbe06
	v_mul_f64 v[140:141], v[124:125], s[30:31]
	v_mul_f64 v[223:224], v[126:127], s[24:25]
	;; [unrolled: 1-line block ×3, first 2 shown]
	v_add_f64 v[2:3], v[2:3], v[128:129]
	v_add_f64 v[0:1], v[0:1], v[130:131]
	v_mul_f64 v[128:129], v[124:125], s[28:29]
	v_fma_f64 v[217:218], v[122:123], s[18:19], v[142:143]
	v_fma_f64 v[219:220], v[122:123], s[8:9], -v[209:210]
	v_fma_f64 v[237:238], v[120:121], s[18:19], -v[227:228]
	v_fma_f64 v[209:210], v[122:123], s[8:9], v[209:210]
	v_fma_f64 v[239:240], v[120:121], s[8:9], v[229:230]
	v_fma_f64 v[229:230], v[120:121], s[8:9], -v[229:230]
	v_mul_f64 v[130:131], v[124:125], s[24:25]
	v_mul_f64 v[124:125], v[124:125], s[36:37]
	v_fma_f64 v[215:216], v[122:123], s[20:21], v[140:141]
	v_fma_f64 v[140:141], v[122:123], s[20:21], -v[140:141]
	v_fma_f64 v[142:143], v[122:123], s[18:19], -v[142:143]
	;; [unrolled: 1-line block ×3, first 2 shown]
	v_fma_f64 v[223:224], v[120:121], s[10:11], v[223:224]
	v_fma_f64 v[235:236], v[120:121], s[20:21], -v[225:226]
	v_fma_f64 v[225:226], v[120:121], s[20:21], v[225:226]
	v_fma_f64 v[227:228], v[120:121], s[18:19], v[227:228]
	;; [unrolled: 1-line block ×3, first 2 shown]
	v_add_f64 v[4:5], v[118:119], v[217:218]
	v_fma_f64 v[128:129], v[122:123], s[2:3], -v[128:129]
	v_add_f64 v[219:220], v[118:119], v[219:220]
	buffer_store_dword v4, off, s[48:51], 0 offset:84 ; 4-byte Folded Spill
	buffer_store_dword v5, off, s[48:51], 0 offset:88 ; 4-byte Folded Spill
	v_add_f64 v[4:5], v[116:117], v[237:238]
	v_fma_f64 v[213:214], v[122:123], s[10:11], v[130:131]
	v_fma_f64 v[130:131], v[122:123], s[10:11], -v[130:131]
	v_fma_f64 v[221:222], v[122:123], s[16:17], -v[124:125]
	v_fma_f64 v[122:123], v[122:123], s[16:17], v[124:125]
	v_mul_f64 v[124:125], v[126:127], s[28:29]
	v_mul_f64 v[126:127], v[126:127], s[36:37]
	v_add_f64 v[223:224], v[116:117], v[223:224]
	v_add_f64 v[225:226], v[116:117], v[225:226]
	;; [unrolled: 1-line block ×4, first 2 shown]
	s_mov_b32 s37, 0x3fcea1e5
	s_mov_b32 s36, s28
	buffer_store_dword v4, off, s[48:51], 0 offset:76 ; 4-byte Folded Spill
	buffer_store_dword v5, off, s[48:51], 0 offset:80 ; 4-byte Folded Spill
	v_add_f64 v[4:5], v[118:119], v[209:210]
	v_add_f64 v[213:214], v[118:119], v[213:214]
	;; [unrolled: 1-line block ×4, first 2 shown]
	v_fma_f64 v[231:232], v[120:121], s[2:3], -v[124:125]
	v_fma_f64 v[124:125], v[120:121], s[2:3], v[124:125]
	v_fma_f64 v[241:242], v[120:121], s[16:17], v[126:127]
	v_fma_f64 v[120:121], v[120:121], s[16:17], -v[126:127]
	v_add_f64 v[126:127], v[118:119], v[211:212]
	buffer_store_dword v4, off, s[48:51], 0 offset:68 ; 4-byte Folded Spill
	buffer_store_dword v5, off, s[48:51], 0 offset:72 ; 4-byte Folded Spill
	v_add_f64 v[4:5], v[116:117], v[229:230]
	buffer_store_dword v4, off, s[48:51], 0 offset:60 ; 4-byte Folded Spill
	buffer_store_dword v5, off, s[48:51], 0 offset:64 ; 4-byte Folded Spill
	v_add_f64 v[4:5], v[118:119], v[122:123]
	v_add_f64 v[211:212], v[116:117], v[231:232]
	;; [unrolled: 1-line block ×10, first 2 shown]
	v_fma_f64 v[118:119], v[199:200], s[16:17], -v[134:135]
	buffer_store_dword v4, off, s[48:51], 0 offset:52 ; 4-byte Folded Spill
	buffer_store_dword v5, off, s[48:51], 0 offset:56 ; 4-byte Folded Spill
	v_add_f64 v[4:5], v[116:117], v[120:121]
	v_fma_f64 v[116:117], v[197:198], s[16:17], v[132:133]
	v_mul_f64 v[120:121], v[189:190], s[24:25]
	v_fma_f64 v[132:133], v[197:198], s[16:17], -v[132:133]
	buffer_store_dword v4, off, s[48:51], 0 offset:44 ; 4-byte Folded Spill
	buffer_store_dword v5, off, s[48:51], 0 offset:48 ; 4-byte Folded Spill
	v_add_f64 v[116:117], v[116:117], v[126:127]
	v_fma_f64 v[122:123], v[162:163], s[10:11], v[120:121]
	v_add_f64 v[118:119], v[118:119], v[211:212]
	v_add_f64 v[128:129], v[132:133], v[128:129]
	v_fma_f64 v[132:133], v[199:200], s[16:17], v[134:135]
	v_fma_f64 v[120:121], v[162:163], s[10:11], -v[120:121]
	buffer_store_dword v247, off, s[48:51], 0 offset:40 ; 4-byte Folded Spill
	buffer_store_dword v188, off, s[48:51], 0 offset:32 ; 4-byte Folded Spill
	;; [unrolled: 1-line block ×3, first 2 shown]
	v_mov_b32_e32 v188, v252
	v_mul_f64 v[251:252], v[168:169], s[34:35]
	v_mov_b32_e32 v180, v253
	v_mul_f64 v[253:254], v[150:151], s[34:35]
	v_mul_f64 v[134:135], v[189:190], s[26:27]
	;; [unrolled: 1-line block ×3, first 2 shown]
	v_add_f64 v[116:117], v[122:123], v[116:117]
	v_mul_f64 v[122:123], v[191:192], s[24:25]
	v_add_f64 v[124:125], v[132:133], v[124:125]
	v_add_f64 v[120:121], v[120:121], v[128:129]
	v_mul_f64 v[128:129], v[193:194], s[34:35]
	v_mul_f64 v[132:133], v[195:196], s[34:35]
	v_fma_f64 v[6:7], v[170:171], s[10:11], -v[4:5]
	v_fma_f64 v[4:5], v[170:171], s[10:11], v[4:5]
	v_fma_f64 v[126:127], v[160:161], s[10:11], -v[122:123]
	v_fma_f64 v[122:123], v[160:161], s[10:11], v[122:123]
	v_add_f64 v[118:119], v[126:127], v[118:119]
	v_mul_f64 v[126:127], v[172:173], s[0:1]
	v_add_f64 v[122:123], v[122:123], v[124:125]
	v_fma_f64 v[211:212], v[174:175], s[8:9], v[126:127]
	v_fma_f64 v[124:125], v[174:175], s[8:9], -v[126:127]
	v_fma_f64 v[126:127], v[148:149], s[18:19], v[253:254]
	v_add_f64 v[116:117], v[211:212], v[116:117]
	v_mul_f64 v[211:212], v[146:147], s[0:1]
	v_add_f64 v[120:121], v[124:125], v[120:121]
	v_fma_f64 v[245:246], v[144:145], s[8:9], -v[211:212]
	v_fma_f64 v[124:125], v[144:145], s[8:9], v[211:212]
	v_fma_f64 v[211:212], v[162:163], s[8:9], v[134:135]
	v_add_f64 v[118:119], v[245:246], v[118:119]
	v_mul_f64 v[245:246], v[156:157], s[30:31]
	v_add_f64 v[122:123], v[124:125], v[122:123]
	v_fma_f64 v[247:248], v[158:159], s[20:21], v[245:246]
	v_fma_f64 v[124:125], v[158:159], s[20:21], -v[245:246]
	v_add_f64 v[116:117], v[247:248], v[116:117]
	v_mul_f64 v[247:248], v[154:155], s[30:31]
	v_add_f64 v[120:121], v[124:125], v[120:121]
	v_fma_f64 v[124:125], v[152:153], s[20:21], v[247:248]
	v_fma_f64 v[249:250], v[152:153], s[20:21], -v[247:248]
	v_mul_f64 v[247:248], v[168:169], s[30:31]
	v_add_f64 v[124:125], v[124:125], v[122:123]
	v_fma_f64 v[122:123], v[170:171], s[18:19], -v[251:252]
	v_add_f64 v[249:250], v[249:250], v[118:119]
	v_fma_f64 v[118:119], v[170:171], s[18:19], v[251:252]
	v_mul_f64 v[251:252], v[150:151], s[28:29]
	v_add_f64 v[122:123], v[122:123], v[120:121]
	v_add_f64 v[120:121], v[126:127], v[124:125]
	v_fma_f64 v[124:125], v[197:198], s[18:19], v[128:129]
	v_fma_f64 v[126:127], v[199:200], s[18:19], -v[132:133]
	v_fma_f64 v[128:129], v[197:198], s[18:19], -v[128:129]
	v_add_f64 v[118:119], v[118:119], v[116:117]
	v_fma_f64 v[116:117], v[148:149], s[18:19], -v[253:254]
	v_mul_f64 v[253:254], v[193:194], s[30:31]
	v_add_f64 v[124:125], v[124:125], v[213:214]
	v_add_f64 v[126:127], v[126:127], v[231:232]
	;; [unrolled: 1-line block ×3, first 2 shown]
	v_fma_f64 v[130:131], v[199:200], s[18:19], v[132:133]
	v_fma_f64 v[132:133], v[162:163], s[8:9], -v[134:135]
	v_add_f64 v[116:117], v[116:117], v[249:250]
	v_mul_f64 v[249:250], v[150:151], s[30:31]
	v_add_f64 v[124:125], v[211:212], v[124:125]
	v_mul_f64 v[211:212], v[191:192], s[26:27]
	v_add_f64 v[130:131], v[130:131], v[223:224]
	v_add_f64 v[128:129], v[132:133], v[128:129]
	v_mul_f64 v[223:224], v[191:192], s[22:23]
	v_fma_f64 v[134:135], v[148:149], s[20:21], v[249:250]
	v_fma_f64 v[213:214], v[160:161], s[8:9], -v[211:212]
	v_fma_f64 v[132:133], v[160:161], s[8:9], v[211:212]
	v_mul_f64 v[211:212], v[193:194], s[26:27]
	v_add_f64 v[126:127], v[213:214], v[126:127]
	v_mul_f64 v[213:214], v[172:173], s[36:37]
	v_add_f64 v[130:131], v[132:133], v[130:131]
	v_fma_f64 v[231:232], v[174:175], s[2:3], v[213:214]
	v_fma_f64 v[132:133], v[174:175], s[2:3], -v[213:214]
	v_mul_f64 v[213:214], v[195:196], s[26:27]
	v_add_f64 v[124:125], v[231:232], v[124:125]
	v_mul_f64 v[231:232], v[146:147], s[36:37]
	v_add_f64 v[128:129], v[132:133], v[128:129]
	v_fma_f64 v[132:133], v[144:145], s[2:3], v[231:232]
	v_fma_f64 v[245:246], v[144:145], s[2:3], -v[231:232]
	v_mul_f64 v[231:232], v[172:173], s[30:31]
	v_add_f64 v[130:131], v[132:133], v[130:131]
	v_fma_f64 v[132:133], v[158:159], s[16:17], -v[136:137]
	v_add_f64 v[126:127], v[245:246], v[126:127]
	v_fma_f64 v[245:246], v[158:159], s[16:17], v[136:137]
	v_add_f64 v[128:129], v[132:133], v[128:129]
	v_fma_f64 v[132:133], v[152:153], s[16:17], v[138:139]
	v_add_f64 v[124:125], v[245:246], v[124:125]
	v_fma_f64 v[245:246], v[152:153], s[16:17], -v[138:139]
	v_add_f64 v[132:133], v[132:133], v[130:131]
	v_fma_f64 v[130:131], v[170:171], s[20:21], -v[247:248]
	v_add_f64 v[245:246], v[245:246], v[126:127]
	v_fma_f64 v[126:127], v[170:171], s[20:21], v[247:248]
	v_mul_f64 v[247:248], v[154:155], s[24:25]
	v_add_f64 v[130:131], v[130:131], v[128:129]
	v_add_f64 v[128:129], v[134:135], v[132:133]
	v_fma_f64 v[132:133], v[197:198], s[8:9], -v[211:212]
	v_fma_f64 v[134:135], v[199:200], s[8:9], v[213:214]
	v_add_f64 v[126:127], v[126:127], v[124:125]
	v_fma_f64 v[124:125], v[148:149], s[20:21], -v[249:250]
	v_mul_f64 v[249:250], v[168:169], s[28:29]
	v_add_f64 v[132:133], v[132:133], v[221:222]
	v_mul_f64 v[221:222], v[189:190], s[22:23]
	v_add_f64 v[134:135], v[134:135], v[239:240]
	;; [unrolled: 2-line block ×3, first 2 shown]
	v_mul_f64 v[245:246], v[156:157], s[24:25]
	v_fma_f64 v[136:137], v[162:163], s[18:19], -v[221:222]
	v_add_f64 v[132:133], v[136:137], v[132:133]
	v_fma_f64 v[136:137], v[160:161], s[18:19], v[223:224]
	v_add_f64 v[134:135], v[136:137], v[134:135]
	v_fma_f64 v[136:137], v[174:175], s[20:21], -v[231:232]
	v_add_f64 v[132:133], v[136:137], v[132:133]
	v_fma_f64 v[136:137], v[144:145], s[20:21], v[239:240]
	v_add_f64 v[134:135], v[136:137], v[134:135]
	;; [unrolled: 4-line block ×4, first 2 shown]
	v_fma_f64 v[136:137], v[197:198], s[20:21], -v[253:254]
	v_add_f64 v[136:137], v[136:137], v[219:220]
	v_mul_f64 v[219:220], v[195:196], s[30:31]
	s_mov_b32 s31, 0x3fedeba7
	v_fma_f64 v[138:139], v[199:200], s[20:21], v[219:220]
	v_add_f64 v[138:139], v[138:139], v[227:228]
	v_mul_f64 v[227:228], v[189:190], s[28:29]
	v_mul_f64 v[189:190], v[189:190], s[30:31]
	v_fma_f64 v[182:183], v[162:163], s[2:3], -v[227:228]
	v_add_f64 v[136:137], v[182:183], v[136:137]
	v_mul_f64 v[182:183], v[191:192], s[28:29]
	v_mul_f64 v[191:192], v[191:192], s[30:31]
	v_fma_f64 v[184:185], v[160:161], s[2:3], v[182:183]
	v_fma_f64 v[182:183], v[160:161], s[2:3], -v[182:183]
	v_add_f64 v[138:139], v[184:185], v[138:139]
	v_mul_f64 v[184:185], v[172:173], s[38:39]
	v_mul_f64 v[172:173], v[172:173], s[22:23]
	v_fma_f64 v[176:177], v[174:175], s[10:11], -v[184:185]
	v_add_f64 v[136:137], v[176:177], v[136:137]
	v_mul_f64 v[176:177], v[146:147], s[38:39]
	v_mul_f64 v[146:147], v[146:147], s[22:23]
	v_fma_f64 v[186:187], v[144:145], s[10:11], v[176:177]
	v_fma_f64 v[176:177], v[144:145], s[10:11], -v[176:177]
	v_add_f64 v[138:139], v[186:187], v[138:139]
	v_mul_f64 v[186:187], v[156:157], s[34:35]
	v_fma_f64 v[243:244], v[158:159], s[18:19], -v[186:187]
	v_add_f64 v[136:137], v[243:244], v[136:137]
	v_mul_f64 v[243:244], v[154:155], s[34:35]
	v_fma_f64 v[241:242], v[152:153], s[18:19], v[243:244]
	v_add_f64 v[241:242], v[241:242], v[138:139]
	v_fma_f64 v[138:139], v[170:171], s[16:17], -v[205:206]
	v_add_f64 v[138:139], v[138:139], v[136:137]
	v_fma_f64 v[136:137], v[148:149], s[16:17], v[207:208]
	v_add_f64 v[136:137], v[136:137], v[241:242]
	v_mul_f64 v[241:242], v[193:194], s[28:29]
	v_mul_f64 v[193:194], v[193:194], s[38:39]
	v_fma_f64 v[229:230], v[197:198], s[2:3], -v[241:242]
	v_add_f64 v[140:141], v[229:230], v[140:141]
	v_fma_f64 v[229:230], v[162:163], s[20:21], -v[189:190]
	v_add_f64 v[140:141], v[229:230], v[140:141]
	;; [unrolled: 2-line block ×3, first 2 shown]
	v_mul_f64 v[229:230], v[195:196], s[28:29]
	v_mul_f64 v[195:196], v[195:196], s[38:39]
	v_fma_f64 v[209:210], v[199:200], s[2:3], v[229:230]
	v_add_f64 v[142:143], v[209:210], v[142:143]
	v_fma_f64 v[209:210], v[160:161], s[20:21], v[191:192]
	v_add_f64 v[142:143], v[209:210], v[142:143]
	;; [unrolled: 2-line block ×3, first 2 shown]
	v_mul_f64 v[209:210], v[156:157], s[26:27]
	v_mul_f64 v[156:157], v[156:157], s[36:37]
	v_fma_f64 v[237:238], v[158:159], s[8:9], -v[209:210]
	v_add_f64 v[140:141], v[237:238], v[140:141]
	v_mul_f64 v[237:238], v[154:155], s[26:27]
	v_mul_f64 v[154:155], v[154:155], s[36:37]
	v_fma_f64 v[217:218], v[152:153], s[8:9], v[237:238]
	v_add_f64 v[217:218], v[217:218], v[142:143]
	v_add_f64 v[142:143], v[6:7], v[140:141]
	v_mul_f64 v[6:7], v[150:151], s[24:25]
	v_fma_f64 v[140:141], v[148:149], s[10:11], v[6:7]
	v_fma_f64 v[6:7], v[148:149], s[10:11], -v[6:7]
	v_add_f64 v[140:141], v[140:141], v[217:218]
	v_fma_f64 v[217:218], v[197:198], s[10:11], -v[193:194]
	v_fma_f64 v[193:194], v[197:198], s[10:11], v[193:194]
	v_add_f64 v[217:218], v[217:218], v[235:236]
	v_fma_f64 v[235:236], v[199:200], s[10:11], v[195:196]
	v_add_f64 v[193:194], v[193:194], v[215:216]
	v_fma_f64 v[195:196], v[199:200], s[10:11], -v[195:196]
	v_add_f64 v[225:226], v[235:236], v[225:226]
	v_fma_f64 v[235:236], v[162:163], s[16:17], -v[164:165]
	v_fma_f64 v[164:165], v[162:163], s[16:17], v[164:165]
	v_add_f64 v[195:196], v[195:196], v[233:234]
	v_add_f64 v[217:218], v[235:236], v[217:218]
	v_fma_f64 v[235:236], v[160:161], s[16:17], v[166:167]
	v_add_f64 v[164:165], v[164:165], v[193:194]
	v_fma_f64 v[166:167], v[160:161], s[16:17], -v[166:167]
	v_add_f64 v[225:226], v[235:236], v[225:226]
	v_fma_f64 v[235:236], v[174:175], s[18:19], -v[172:173]
	v_fma_f64 v[172:173], v[174:175], s[18:19], v[172:173]
	v_add_f64 v[166:167], v[166:167], v[195:196]
	;; [unrolled: 8-line block ×3, first 2 shown]
	v_add_f64 v[217:218], v[235:236], v[217:218]
	v_add_f64 v[156:157], v[156:157], v[164:165]
	s_clause 0x3
	buffer_load_dword v164, off, s[48:51], 0 offset:84
	buffer_load_dword v165, off, s[48:51], 0 offset:88
	;; [unrolled: 1-line block ×4, first 2 shown]
	v_fma_f64 v[235:236], v[152:153], s[2:3], v[154:155]
	v_fma_f64 v[154:155], v[152:153], s[2:3], -v[154:155]
	s_clause 0x1
	buffer_load_dword v172, off, s[48:51], 0 offset:68
	buffer_load_dword v173, off, s[48:51], 0 offset:72
	v_add_f64 v[225:226], v[235:236], v[225:226]
	v_add_f64 v[154:155], v[154:155], v[146:147]
	v_fma_f64 v[146:147], v[197:198], s[2:3], v[241:242]
	s_waitcnt vmcnt(4)
	v_add_f64 v[146:147], v[146:147], v[164:165]
	v_fma_f64 v[164:165], v[199:200], s[2:3], -v[229:230]
	s_waitcnt vmcnt(2)
	v_add_f64 v[164:165], v[164:165], v[166:167]
	v_fma_f64 v[166:167], v[162:163], s[20:21], v[189:190]
	s_clause 0x1
	buffer_load_dword v189, off, s[48:51], 0 offset:60
	buffer_load_dword v190, off, s[48:51], 0 offset:64
	v_add_f64 v[146:147], v[166:167], v[146:147]
	v_fma_f64 v[166:167], v[160:161], s[20:21], -v[191:192]
	v_fma_f64 v[160:161], v[160:161], s[18:19], -v[223:224]
	v_add_f64 v[164:165], v[166:167], v[164:165]
	v_fma_f64 v[166:167], v[174:175], s[16:17], v[201:202]
	v_add_f64 v[146:147], v[166:167], v[146:147]
	v_fma_f64 v[166:167], v[144:145], s[16:17], -v[203:204]
	v_fma_f64 v[144:145], v[144:145], s[20:21], -v[239:240]
	v_add_f64 v[164:165], v[166:167], v[164:165]
	v_fma_f64 v[166:167], v[158:159], s[8:9], v[209:210]
	v_add_f64 v[166:167], v[166:167], v[146:147]
	v_fma_f64 v[146:147], v[152:153], s[8:9], -v[237:238]
	v_add_f64 v[164:165], v[146:147], v[164:165]
	v_fma_f64 v[146:147], v[197:198], s[20:21], v[253:254]
	v_mov_b32_e32 v253, v180
	v_mov_b32_e32 v254, v18
	s_waitcnt vmcnt(2)
	v_add_f64 v[146:147], v[146:147], v[172:173]
	v_fma_f64 v[172:173], v[199:200], s[20:21], -v[219:220]
	s_waitcnt vmcnt(0)
	v_add_f64 v[172:173], v[172:173], v[189:190]
	v_fma_f64 v[189:190], v[162:163], s[2:3], v[227:228]
	v_fma_f64 v[162:163], v[162:163], s[18:19], v[221:222]
	v_add_f64 v[172:173], v[182:183], v[172:173]
	v_add_f64 v[146:147], v[189:190], v[146:147]
	v_fma_f64 v[182:183], v[174:175], s[10:11], v[184:185]
	v_fma_f64 v[184:185], v[199:200], s[8:9], -v[213:214]
	v_add_f64 v[172:173], v[176:177], v[172:173]
	s_clause 0x1
	buffer_load_dword v176, off, s[48:51], 0 offset:52
	buffer_load_dword v177, off, s[48:51], 0 offset:56
	v_add_f64 v[146:147], v[182:183], v[146:147]
	v_fma_f64 v[182:183], v[197:198], s[8:9], v[211:212]
	s_waitcnt vmcnt(0)
	v_add_f64 v[176:177], v[182:183], v[176:177]
	s_clause 0x1
	buffer_load_dword v182, off, s[48:51], 0 offset:44
	buffer_load_dword v183, off, s[48:51], 0 offset:48
	v_add_f64 v[162:163], v[162:163], v[176:177]
	v_fma_f64 v[176:177], v[148:149], s[16:17], -v[207:208]
	s_waitcnt vmcnt(0)
	v_add_f64 v[182:183], v[184:185], v[182:183]
	v_fma_f64 v[184:185], v[158:159], s[18:19], v[186:187]
	v_fma_f64 v[158:159], v[158:159], s[10:11], v[245:246]
	v_add_f64 v[160:161], v[160:161], v[182:183]
	v_add_f64 v[184:185], v[184:185], v[146:147]
	v_fma_f64 v[146:147], v[174:175], s[20:21], v[231:232]
	v_fma_f64 v[174:175], v[152:153], s[18:19], -v[243:244]
	v_fma_f64 v[182:183], v[148:149], s[2:3], -v[251:252]
	v_mov_b32_e32 v252, v188
	s_clause 0x1
	buffer_load_dword v180, off, s[48:51], 0 offset:36
	buffer_load_dword v188, off, s[48:51], 0 offset:32
	v_fma_f64 v[152:153], v[152:153], s[10:11], -v[247:248]
	v_add_f64 v[144:145], v[144:145], v[160:161]
	v_mul_f64 v[160:161], v[168:169], s[0:1]
	v_add_f64 v[146:147], v[146:147], v[162:163]
	v_add_f64 v[172:173], v[174:175], v[172:173]
	v_fma_f64 v[168:169], v[170:171], s[16:17], v[205:206]
	v_add_f64 v[186:187], v[152:153], v[144:145]
	v_fma_f64 v[162:163], v[170:171], s[8:9], -v[160:161]
	v_add_f64 v[174:175], v[158:159], v[146:147]
	v_mul_f64 v[146:147], v[150:151], s[0:1]
	v_fma_f64 v[160:161], v[170:171], s[8:9], v[160:161]
	v_fma_f64 v[170:171], v[170:171], s[2:3], v[249:250]
	v_add_f64 v[152:153], v[6:7], v[164:165]
	v_mov_b32_e32 v251, v17
	v_mov_b32_e32 v250, v16
	;; [unrolled: 1-line block ×4, first 2 shown]
	v_fma_f64 v[158:159], v[148:149], s[8:9], -v[146:147]
	v_fma_f64 v[150:151], v[148:149], s[8:9], v[146:147]
	v_add_f64 v[146:147], v[162:163], v[217:218]
	v_add_f64 v[162:163], v[170:171], v[174:175]
	;; [unrolled: 1-line block ×4, first 2 shown]
	buffer_load_dword v5, off, s[48:51], 0 offset:40 ; 4-byte Folded Reload
	v_add_f64 v[144:145], v[150:151], v[225:226]
	v_add_f64 v[150:151], v[160:161], v[156:157]
	;; [unrolled: 1-line block ×5, first 2 shown]
	v_mov_b32_e32 v4, 4
	v_mov_b32_e32 v185, v13
	;; [unrolled: 1-line block ×9, first 2 shown]
	s_waitcnt vmcnt(0)
	v_lshlrev_b32_sdwa v4, v4, v5 dst_sel:DWORD dst_unused:UNUSED_PAD src0_sel:DWORD src1_sel:WORD_0
	ds_write_b128 v4, v[0:3]
	ds_write_b128 v4, v[132:135] offset:16
	ds_write_b128 v4, v[136:139] offset:32
	ds_write_b128 v4, v[140:143] offset:48
	ds_write_b128 v4, v[144:147] offset:64
	ds_write_b128 v4, v[128:131] offset:80
	ds_write_b128 v4, v[120:123] offset:96
	ds_write_b128 v4, v[116:119] offset:112
	ds_write_b128 v4, v[124:127] offset:128
	ds_write_b128 v4, v[148:151] offset:144
	ds_write_b128 v4, v[152:155] offset:160
	ds_write_b128 v4, v[156:159] offset:176
	ds_write_b128 v4, v[160:163] offset:192
.LBB0_13:
	s_or_b32 exec_lo, exec_lo, s33
	s_waitcnt lgkmcnt(0)
	s_waitcnt_vscnt null, 0x0
	s_barrier
	buffer_gl0_inv
	ds_read_b128 v[0:3], v179 offset:9984
	ds_read_b128 v[116:119], v179 offset:19968
	;; [unrolled: 1-line block ×8, first 2 shown]
	s_clause 0x7
	buffer_load_dword v12, off, s[48:51], 0
	buffer_load_dword v13, off, s[48:51], 0 offset:4
	buffer_load_dword v14, off, s[48:51], 0 offset:8
	;; [unrolled: 1-line block ×7, first 2 shown]
	s_mov_b32 s0, 0xe8584caa
	s_mov_b32 s1, 0xbfebb67a
	;; [unrolled: 1-line block ×4, first 2 shown]
	s_waitcnt lgkmcnt(7)
	v_mul_f64 v[4:5], v[22:23], v[2:3]
	v_mul_f64 v[6:7], v[22:23], v[0:1]
	s_waitcnt lgkmcnt(6)
	v_mul_f64 v[22:23], v[250:251], v[118:119]
	v_mul_f64 v[10:11], v[250:251], v[116:117]
	;; [unrolled: 3-line block ×4, first 2 shown]
	s_waitcnt lgkmcnt(1)
	v_mul_f64 v[154:155], v[34:35], v[138:139]
	s_waitcnt lgkmcnt(0)
	v_mul_f64 v[156:157], v[30:31], v[142:143]
	v_mul_f64 v[34:35], v[34:35], v[136:137]
	;; [unrolled: 1-line block ×3, first 2 shown]
	v_fma_f64 v[158:159], v[20:21], v[0:1], v[4:5]
	v_fma_f64 v[20:21], v[20:21], v[2:3], -v[6:7]
	v_fma_f64 v[22:23], v[248:249], v[116:117], v[22:23]
	v_fma_f64 v[116:117], v[248:249], v[118:119], -v[10:11]
	;; [unrolled: 2-line block ×3, first 2 shown]
	ds_read_b128 v[0:3], v179
	s_waitcnt vmcnt(4)
	v_mul_f64 v[146:147], v[14:15], v[126:127]
	v_mul_f64 v[14:15], v[14:15], v[124:125]
	s_waitcnt vmcnt(0)
	v_mul_f64 v[148:149], v[18:19], v[130:131]
	v_mul_f64 v[18:19], v[18:19], v[128:129]
	v_fma_f64 v[26:27], v[12:13], v[124:125], v[146:147]
	v_fma_f64 v[120:121], v[12:13], v[126:127], -v[14:15]
	v_fma_f64 v[122:123], v[16:17], v[128:129], v[148:149]
	v_fma_f64 v[16:17], v[16:17], v[130:131], -v[18:19]
	;; [unrolled: 2-line block ×3, first 2 shown]
	v_fma_f64 v[126:127], v[32:33], v[136:137], v[154:155]
	v_fma_f64 v[128:129], v[28:29], v[140:141], v[156:157]
	v_fma_f64 v[32:33], v[32:33], v[138:139], -v[34:35]
	v_fma_f64 v[28:29], v[28:29], v[142:143], -v[30:31]
	v_add_f64 v[30:31], v[158:159], v[22:23]
	v_add_f64 v[34:35], v[20:21], v[116:117]
	ds_read_b128 v[4:7], v179 offset:2496
	ds_read_b128 v[8:11], v179 offset:4992
	;; [unrolled: 1-line block ×3, first 2 shown]
	s_waitcnt lgkmcnt(3)
	v_add_f64 v[136:137], v[0:1], v[158:159]
	v_add_f64 v[140:141], v[20:21], -v[116:117]
	v_add_f64 v[20:21], v[2:3], v[20:21]
	v_add_f64 v[146:147], v[158:159], -v[22:23]
	s_waitcnt lgkmcnt(0)
	s_barrier
	buffer_gl0_inv
	v_add_f64 v[130:131], v[118:119], v[26:27]
	v_add_f64 v[132:133], v[24:25], v[120:121]
	v_add_f64 v[160:161], v[24:25], -v[120:121]
	v_add_f64 v[134:135], v[122:123], v[18:19]
	v_add_f64 v[138:139], v[16:17], v[124:125]
	;; [unrolled: 1-line block ×6, first 2 shown]
	v_fma_f64 v[30:31], v[30:31], -0.5, v[0:1]
	v_fma_f64 v[24:25], v[34:35], -0.5, v[2:3]
	v_add_f64 v[148:149], v[4:5], v[118:119]
	v_add_f64 v[34:35], v[118:119], -v[26:27]
	v_add_f64 v[158:159], v[14:15], v[32:33]
	v_add_f64 v[154:155], v[10:11], v[16:17]
	v_add_f64 v[122:123], v[122:123], -v[18:19]
	v_add_f64 v[156:157], v[12:13], v[126:127]
	v_add_f64 v[162:163], v[32:33], -v[28:29]
	v_add_f64 v[126:127], v[126:127], -v[128:129]
	v_add_f64 v[0:1], v[136:137], v[22:23]
	v_fma_f64 v[118:119], v[130:131], -0.5, v[4:5]
	v_fma_f64 v[132:133], v[132:133], -0.5, v[6:7]
	v_add_f64 v[130:131], v[16:17], -v[124:125]
	v_add_f64 v[2:3], v[20:21], v[116:117]
	v_fma_f64 v[134:135], v[134:135], -0.5, v[8:9]
	v_fma_f64 v[138:139], v[138:139], -0.5, v[10:11]
	;; [unrolled: 1-line block ×3, first 2 shown]
	v_add_f64 v[6:7], v[150:151], v[120:121]
	v_fma_f64 v[136:137], v[144:145], -0.5, v[14:15]
	v_add_f64 v[8:9], v[152:153], v[18:19]
	v_fma_f64 v[16:17], v[140:141], s[0:1], v[30:31]
	v_fma_f64 v[18:19], v[146:147], s[2:3], v[24:25]
	;; [unrolled: 1-line block ×4, first 2 shown]
	v_add_f64 v[4:5], v[148:149], v[26:27]
	v_add_f64 v[14:15], v[158:159], v[28:29]
	;; [unrolled: 1-line block ×4, first 2 shown]
	v_fma_f64 v[24:25], v[160:161], s[0:1], v[118:119]
	v_fma_f64 v[26:27], v[34:35], s[2:3], v[132:133]
	v_fma_f64 v[28:29], v[160:161], s[2:3], v[118:119]
	v_fma_f64 v[30:31], v[34:35], s[0:1], v[132:133]
	v_fma_f64 v[32:33], v[130:131], s[0:1], v[134:135]
	v_fma_f64 v[34:35], v[122:123], s[2:3], v[138:139]
	v_fma_f64 v[116:117], v[130:131], s[2:3], v[134:135]
	v_fma_f64 v[118:119], v[122:123], s[0:1], v[138:139]
	v_fma_f64 v[120:121], v[162:163], s[0:1], v[142:143]
	v_fma_f64 v[122:123], v[126:127], s[2:3], v[136:137]
	v_fma_f64 v[124:125], v[162:163], s[2:3], v[142:143]
	v_fma_f64 v[126:127], v[126:127], s[0:1], v[136:137]
	ds_write_b128 v180, v[0:3]
	ds_write_b128 v180, v[16:19] offset:208
	ds_write_b128 v180, v[20:23] offset:416
	ds_write_b128 v187, v[4:7]
	ds_write_b128 v187, v[24:27] offset:208
	ds_write_b128 v187, v[28:31] offset:416
	;; [unrolled: 3-line block ×4, first 2 shown]
	s_waitcnt lgkmcnt(0)
	s_barrier
	buffer_gl0_inv
	ds_read_b128 v[0:3], v179 offset:7488
	ds_read_b128 v[4:7], v179 offset:14976
	;; [unrolled: 1-line block ×10, first 2 shown]
	ds_read_b128 v[120:123], v179
	ds_read_b128 v[124:127], v179 offset:2496
	s_waitcnt lgkmcnt(0)
	s_barrier
	buffer_gl0_inv
	v_mul_f64 v[128:129], v[70:71], v[2:3]
	v_mul_f64 v[70:71], v[70:71], v[0:1]
	;; [unrolled: 1-line block ×18, first 2 shown]
	v_fma_f64 v[0:1], v[68:69], v[0:1], v[128:129]
	v_fma_f64 v[2:3], v[68:69], v[2:3], -v[70:71]
	v_fma_f64 v[4:5], v[64:65], v[4:5], v[130:131]
	v_fma_f64 v[6:7], v[64:65], v[6:7], -v[66:67]
	v_fma_f64 v[8:9], v[56:57], v[8:9], v[132:133]
	v_fma_f64 v[10:11], v[56:57], v[10:11], -v[58:59]
	v_fma_f64 v[12:13], v[52:53], v[12:13], v[134:135]
	v_fma_f64 v[14:15], v[52:53], v[14:15], -v[54:55]
	v_fma_f64 v[16:17], v[60:61], v[16:17], v[136:137]
	v_fma_f64 v[18:19], v[60:61], v[18:19], -v[62:63]
	v_fma_f64 v[20:21], v[48:49], v[20:21], v[138:139]
	v_fma_f64 v[22:23], v[48:49], v[22:23], -v[50:51]
	v_fma_f64 v[24:25], v[80:81], v[24:25], v[140:141]
	v_fma_f64 v[26:27], v[80:81], v[26:27], -v[82:83]
	v_fma_f64 v[28:29], v[76:77], v[28:29], v[142:143]
	v_fma_f64 v[30:31], v[76:77], v[30:31], -v[78:79]
	v_fma_f64 v[32:33], v[72:73], v[32:33], v[144:145]
	v_fma_f64 v[34:35], v[72:73], v[34:35], -v[74:75]
	v_add_f64 v[48:49], v[120:121], -v[4:5]
	v_add_f64 v[50:51], v[122:123], -v[6:7]
	;; [unrolled: 1-line block ×12, first 2 shown]
	v_fma_f64 v[30:31], v[120:121], 2.0, -v[48:49]
	v_fma_f64 v[34:35], v[122:123], 2.0, -v[50:51]
	v_fma_f64 v[10:11], v[0:1], 2.0, -v[4:5]
	v_fma_f64 v[22:23], v[2:3], 2.0, -v[6:7]
	v_add_f64 v[0:1], v[48:49], v[6:7]
	v_add_f64 v[2:3], v[50:51], -v[4:5]
	v_fma_f64 v[58:59], v[124:125], 2.0, -v[52:53]
	v_fma_f64 v[62:63], v[126:127], 2.0, -v[54:55]
	v_fma_f64 v[12:13], v[12:13], 2.0, -v[16:17]
	v_fma_f64 v[14:15], v[14:15], 2.0, -v[8:9]
	v_add_f64 v[4:5], v[52:53], v[8:9]
	v_add_f64 v[6:7], v[54:55], -v[16:17]
	;; [unrolled: 6-line block ×3, first 2 shown]
	v_add_f64 v[8:9], v[30:31], -v[10:11]
	v_add_f64 v[10:11], v[34:35], -v[22:23]
	;; [unrolled: 1-line block ×4, first 2 shown]
	v_fma_f64 v[28:29], v[52:53], 2.0, -v[4:5]
	v_add_f64 v[20:21], v[64:65], -v[24:25]
	v_add_f64 v[22:23], v[66:67], -v[26:27]
	v_fma_f64 v[24:25], v[48:49], 2.0, -v[0:1]
	v_fma_f64 v[26:27], v[50:51], 2.0, -v[2:3]
	;; [unrolled: 1-line block ×11, first 2 shown]
	ds_write_b128 v254, v[0:3] offset:1872
	ds_write_b128 v254, v[24:27] offset:624
	;; [unrolled: 1-line block ×3, first 2 shown]
	ds_write_b128 v254, v[32:35]
	ds_write_b128 v253, v[48:51]
	ds_write_b128 v253, v[28:31] offset:624
	ds_write_b128 v253, v[12:15] offset:1248
	ds_write_b128 v253, v[4:7] offset:1872
	ds_write_b128 v188, v[56:59]
	ds_write_b128 v188, v[52:55] offset:624
	ds_write_b128 v188, v[20:23] offset:1248
	;; [unrolled: 1-line block ×3, first 2 shown]
	s_waitcnt lgkmcnt(0)
	s_barrier
	buffer_gl0_inv
	ds_read_b128 v[0:3], v179 offset:14976
	ds_read_b128 v[4:7], v179 offset:24960
	;; [unrolled: 1-line block ×8, first 2 shown]
	s_waitcnt lgkmcnt(7)
	v_mul_f64 v[32:33], v[86:87], v[0:1]
	s_waitcnt lgkmcnt(6)
	v_mul_f64 v[34:35], v[90:91], v[4:5]
	;; [unrolled: 2-line block ×5, first 2 shown]
	v_mul_f64 v[58:59], v[86:87], v[2:3]
	v_mul_f64 v[60:61], v[90:91], v[6:7]
	;; [unrolled: 1-line block ×3, first 2 shown]
	s_waitcnt lgkmcnt(0)
	v_mul_f64 v[68:69], v[42:43], v[30:31]
	v_mul_f64 v[70:71], v[42:43], v[28:29]
	;; [unrolled: 1-line block ×3, first 2 shown]
	v_fma_f64 v[62:63], v[84:85], v[2:3], -v[32:33]
	v_fma_f64 v[64:65], v[88:89], v[6:7], -v[34:35]
	v_mul_f64 v[2:3], v[38:39], v[20:21]
	v_mul_f64 v[6:7], v[86:87], v[10:11]
	v_fma_f64 v[10:11], v[84:85], v[10:11], -v[52:53]
	v_fma_f64 v[14:15], v[88:89], v[14:15], -v[54:55]
	ds_read_b128 v[32:35], v179 offset:12480
	ds_read_b128 v[48:51], v179 offset:22464
	v_mul_f64 v[52:53], v[46:47], v[26:27]
	v_mul_f64 v[54:55], v[46:47], v[24:25]
	v_fma_f64 v[58:59], v[84:85], v[0:1], v[58:59]
	v_fma_f64 v[60:61], v[88:89], v[4:5], v[60:61]
	v_fma_f64 v[18:19], v[36:37], v[18:19], -v[56:57]
	v_mul_f64 v[38:39], v[38:39], v[22:23]
	v_fma_f64 v[12:13], v[88:89], v[12:13], v[66:67]
	v_fma_f64 v[28:29], v[40:41], v[28:29], v[68:69]
	v_fma_f64 v[30:31], v[40:41], v[30:31], -v[70:71]
	v_fma_f64 v[16:17], v[36:37], v[16:17], v[72:73]
	v_add_f64 v[4:5], v[62:63], v[64:65]
	v_fma_f64 v[22:23], v[36:37], v[22:23], -v[2:3]
	s_waitcnt lgkmcnt(1)
	v_mul_f64 v[56:57], v[46:47], v[34:35]
	v_mul_f64 v[46:47], v[46:47], v[32:33]
	s_waitcnt lgkmcnt(0)
	v_mul_f64 v[74:75], v[42:43], v[50:51]
	v_mul_f64 v[42:43], v[42:43], v[48:49]
	v_fma_f64 v[8:9], v[84:85], v[8:9], v[6:7]
	v_add_f64 v[6:7], v[10:11], v[14:15]
	v_fma_f64 v[24:25], v[44:45], v[24:25], v[52:53]
	v_fma_f64 v[26:27], v[44:45], v[26:27], -v[54:55]
	v_add_f64 v[52:53], v[58:59], v[60:61]
	v_add_f64 v[54:55], v[58:59], -v[60:61]
	ds_read_b128 v[0:3], v179
	v_fma_f64 v[20:21], v[36:37], v[20:21], v[38:39]
	v_add_f64 v[68:69], v[62:63], -v[64:65]
	v_add_f64 v[72:73], v[10:11], -v[14:15]
	v_fma_f64 v[66:67], v[4:5], -0.5, v[18:19]
	v_add_f64 v[18:19], v[18:19], v[62:63]
	v_fma_f64 v[32:33], v[44:45], v[32:33], v[56:57]
	v_fma_f64 v[34:35], v[44:45], v[34:35], -v[46:47]
	v_fma_f64 v[44:45], v[40:41], v[48:49], v[74:75]
	v_fma_f64 v[40:41], v[40:41], v[50:51], -v[42:43]
	v_add_f64 v[36:37], v[8:9], v[12:13]
	v_add_f64 v[38:39], v[8:9], -v[12:13]
	v_fma_f64 v[42:43], v[6:7], -0.5, v[22:23]
	ds_read_b128 v[4:7], v179 offset:2496
	v_add_f64 v[48:49], v[24:25], v[28:29]
	v_add_f64 v[50:51], v[26:27], -v[30:31]
	s_waitcnt lgkmcnt(1)
	v_add_f64 v[56:57], v[2:3], v[26:27]
	v_add_f64 v[26:27], v[26:27], v[30:31]
	v_fma_f64 v[52:53], v[52:53], -0.5, v[16:17]
	v_add_f64 v[46:47], v[0:1], v[24:25]
	v_add_f64 v[16:17], v[16:17], v[58:59]
	;; [unrolled: 1-line block ×4, first 2 shown]
	v_add_f64 v[24:25], v[24:25], -v[28:29]
	s_waitcnt lgkmcnt(0)
	s_barrier
	v_fma_f64 v[70:71], v[54:55], s[2:3], v[66:67]
	v_fma_f64 v[54:55], v[54:55], s[0:1], v[66:67]
	v_add_f64 v[18:19], v[18:19], v[64:65]
	buffer_gl0_inv
	v_add_f64 v[58:59], v[32:33], v[44:45]
	v_add_f64 v[66:67], v[34:35], v[40:41]
	v_fma_f64 v[36:37], v[36:37], -0.5, v[20:21]
	v_add_f64 v[74:75], v[34:35], -v[40:41]
	v_fma_f64 v[62:63], v[38:39], s[2:3], v[42:43]
	v_fma_f64 v[38:39], v[38:39], s[0:1], v[42:43]
	v_add_f64 v[42:43], v[4:5], v[32:33]
	v_add_f64 v[34:35], v[6:7], v[34:35]
	v_fma_f64 v[0:1], v[48:49], -0.5, v[0:1]
	v_add_f64 v[22:23], v[56:57], v[30:31]
	v_fma_f64 v[2:3], v[26:27], -0.5, v[2:3]
	v_fma_f64 v[26:27], v[68:69], s[0:1], v[52:53]
	v_add_f64 v[20:21], v[46:47], v[28:29]
	v_fma_f64 v[28:29], v[68:69], s[2:3], v[52:53]
	v_add_f64 v[32:33], v[32:33], -v[44:45]
	v_add_f64 v[16:17], v[16:17], v[60:61]
	v_add_f64 v[12:13], v[8:9], v[12:13]
	;; [unrolled: 1-line block ×3, first 2 shown]
	v_mul_f64 v[30:31], v[70:71], s[0:1]
	v_mul_f64 v[48:49], v[70:71], 0.5
	v_mul_f64 v[46:47], v[54:55], s[0:1]
	v_mul_f64 v[52:53], v[54:55], -0.5
	v_fma_f64 v[4:5], v[58:59], -0.5, v[4:5]
	v_fma_f64 v[6:7], v[66:67], -0.5, v[6:7]
	v_fma_f64 v[54:55], v[72:73], s[0:1], v[36:37]
	v_fma_f64 v[36:37], v[72:73], s[2:3], v[36:37]
	v_mul_f64 v[56:57], v[62:63], s[0:1]
	v_mul_f64 v[62:63], v[62:63], 0.5
	v_mul_f64 v[58:59], v[38:39], s[0:1]
	v_mul_f64 v[38:39], v[38:39], -0.5
	v_add_f64 v[42:43], v[42:43], v[44:45]
	v_add_f64 v[34:35], v[34:35], v[40:41]
	v_fma_f64 v[40:41], v[50:51], s[0:1], v[0:1]
	v_fma_f64 v[44:45], v[50:51], s[2:3], v[0:1]
	v_fma_f64 v[50:51], v[24:25], s[2:3], v[2:3]
	v_fma_f64 v[60:61], v[24:25], s[0:1], v[2:3]
	v_add_f64 v[2:3], v[22:23], v[18:19]
	v_add_f64 v[0:1], v[20:21], v[16:17]
	v_fma_f64 v[24:25], v[26:27], 0.5, v[30:31]
	v_fma_f64 v[26:27], v[26:27], s[2:3], v[48:49]
	v_fma_f64 v[30:31], v[28:29], -0.5, v[46:47]
	v_fma_f64 v[46:47], v[28:29], s[2:3], v[52:53]
	v_fma_f64 v[48:49], v[74:75], s[0:1], v[4:5]
	v_fma_f64 v[64:65], v[32:33], s[2:3], v[6:7]
	v_fma_f64 v[52:53], v[74:75], s[2:3], v[4:5]
	v_fma_f64 v[66:67], v[32:33], s[0:1], v[6:7]
	v_fma_f64 v[56:57], v[54:55], 0.5, v[56:57]
	v_fma_f64 v[54:55], v[54:55], s[2:3], v[62:63]
	v_fma_f64 v[58:59], v[36:37], -0.5, v[58:59]
	v_fma_f64 v[62:63], v[36:37], s[2:3], v[38:39]
	v_add_f64 v[4:5], v[20:21], -v[16:17]
	v_add_f64 v[6:7], v[22:23], -v[18:19]
	v_add_f64 v[8:9], v[42:43], v[12:13]
	v_add_f64 v[10:11], v[34:35], v[14:15]
	v_add_f64 v[12:13], v[42:43], -v[12:13]
	v_add_f64 v[14:15], v[34:35], -v[14:15]
	v_add_f64 v[16:17], v[40:41], v[24:25]
	v_add_f64 v[18:19], v[50:51], v[26:27]
	;; [unrolled: 1-line block ×4, first 2 shown]
	v_add_f64 v[24:25], v[40:41], -v[24:25]
	v_add_f64 v[26:27], v[50:51], -v[26:27]
	;; [unrolled: 1-line block ×4, first 2 shown]
	v_add_f64 v[32:33], v[48:49], v[56:57]
	v_add_f64 v[34:35], v[64:65], v[54:55]
	;; [unrolled: 1-line block ×4, first 2 shown]
	v_add_f64 v[40:41], v[48:49], -v[56:57]
	v_add_f64 v[42:43], v[64:65], -v[54:55]
	;; [unrolled: 1-line block ×4, first 2 shown]
	ds_write_b128 v179, v[0:3]
	ds_write_b128 v179, v[4:7] offset:7488
	ds_write_b128 v179, v[8:11] offset:14976
	;; [unrolled: 1-line block ×11, first 2 shown]
	s_waitcnt lgkmcnt(0)
	s_barrier
	buffer_gl0_inv
	ds_read_b128 v[0:3], v179 offset:14976
	ds_read_b128 v[4:7], v179 offset:17472
	;; [unrolled: 1-line block ×6, first 2 shown]
	ds_read_b128 v[24:27], v179
	ds_read_b128 v[28:31], v179 offset:2496
	ds_read_b128 v[32:35], v179 offset:4992
	;; [unrolled: 1-line block ×3, first 2 shown]
	s_waitcnt lgkmcnt(9)
	v_mul_f64 v[40:41], v[102:103], v[2:3]
	v_mul_f64 v[42:43], v[102:103], v[0:1]
	s_waitcnt lgkmcnt(8)
	v_mul_f64 v[44:45], v[98:99], v[6:7]
	v_mul_f64 v[46:47], v[98:99], v[4:5]
	;; [unrolled: 3-line block ×6, first 2 shown]
	v_fma_f64 v[40:41], v[100:101], v[0:1], v[40:41]
	v_fma_f64 v[42:43], v[100:101], v[2:3], -v[42:43]
	v_fma_f64 v[44:45], v[96:97], v[4:5], v[44:45]
	v_fma_f64 v[46:47], v[96:97], v[6:7], -v[46:47]
	;; [unrolled: 2-line block ×6, first 2 shown]
	ds_read_b128 v[0:3], v179 offset:9984
	ds_read_b128 v[4:7], v179 offset:12480
	s_waitcnt lgkmcnt(5)
	v_add_f64 v[8:9], v[24:25], -v[40:41]
	v_add_f64 v[10:11], v[26:27], -v[42:43]
	s_waitcnt lgkmcnt(4)
	v_add_f64 v[12:13], v[28:29], -v[44:45]
	v_add_f64 v[14:15], v[30:31], -v[46:47]
	s_waitcnt lgkmcnt(3)
	v_add_f64 v[16:17], v[32:33], -v[48:49]
	v_add_f64 v[18:19], v[34:35], -v[50:51]
	s_waitcnt lgkmcnt(2)
	v_add_f64 v[20:21], v[36:37], -v[52:53]
	v_add_f64 v[22:23], v[38:39], -v[54:55]
	s_waitcnt lgkmcnt(1)
	v_add_f64 v[40:41], v[0:1], -v[56:57]
	v_add_f64 v[42:43], v[2:3], -v[58:59]
	s_waitcnt lgkmcnt(0)
	v_add_f64 v[44:45], v[4:5], -v[60:61]
	v_add_f64 v[46:47], v[6:7], -v[62:63]
	v_fma_f64 v[24:25], v[24:25], 2.0, -v[8:9]
	v_fma_f64 v[26:27], v[26:27], 2.0, -v[10:11]
	;; [unrolled: 1-line block ×12, first 2 shown]
	ds_write_b128 v179, v[8:11] offset:14976
	ds_write_b128 v179, v[12:15] offset:17472
	;; [unrolled: 1-line block ×6, first 2 shown]
	ds_write_b128 v179, v[24:27]
	ds_write_b128 v179, v[28:31] offset:2496
	ds_write_b128 v179, v[32:35] offset:4992
	ds_write_b128 v179, v[36:39] offset:7488
	ds_write_b128 v179, v[0:3] offset:9984
	ds_write_b128 v179, v[4:7] offset:12480
	s_waitcnt lgkmcnt(0)
	s_barrier
	buffer_gl0_inv
	s_and_b32 exec_lo, exec_lo, vcc_lo
	s_cbranch_execz .LBB0_15
; %bb.14:
	v_add_co_u32 v0, s0, s14, v255
	v_add_co_ci_u32_e64 v1, null, s15, 0, s0
	v_mad_u64_u32 v[50:51], null, s6, v176, 0
	v_add_co_u32 v6, vcc_lo, 0x800, v0
	v_add_co_ci_u32_e32 v7, vcc_lo, 0, v1, vcc_lo
	v_add_co_u32 v10, vcc_lo, 0x1000, v0
	v_add_co_ci_u32_e32 v11, vcc_lo, 0, v1, vcc_lo
	;; [unrolled: 2-line block ×8, first 2 shown]
	v_add_co_u32 v38, vcc_lo, 0x5000, v0
	s_clause 0x2
	global_load_dwordx4 v[2:5], v255, s[14:15]
	global_load_dwordx4 v[6:9], v[6:7], off offset:256
	global_load_dwordx4 v[10:13], v[10:11], off offset:512
	v_add_co_ci_u32_e32 v39, vcc_lo, 0, v1, vcc_lo
	v_add_co_u32 v42, vcc_lo, 0x5800, v0
	v_add_co_ci_u32_e32 v43, vcc_lo, 0, v1, vcc_lo
	v_add_co_u32 v46, vcc_lo, 0x6000, v0
	s_clause 0x5
	global_load_dwordx4 v[14:17], v[14:15], off offset:768
	global_load_dwordx4 v[18:21], v[18:19], off offset:1024
	;; [unrolled: 1-line block ×5, first 2 shown]
	global_load_dwordx4 v[34:37], v[34:35], off
	v_add_co_ci_u32_e32 v47, vcc_lo, 0, v1, vcc_lo
	s_clause 0x2
	global_load_dwordx4 v[38:41], v[38:39], off offset:256
	global_load_dwordx4 v[42:45], v[42:43], off offset:512
	;; [unrolled: 1-line block ×3, first 2 shown]
	v_mad_u64_u32 v[52:53], null, s4, v177, 0
	s_mul_i32 s0, s5, 0x900
	s_mul_hi_u32 s1, s4, 0x900
	s_mul_i32 s2, s4, 0x900
	s_add_i32 s3, s1, s0
	s_mov_b32 s0, 0x11811812
	s_mov_b32 s1, 0x3f418118
	v_mad_u64_u32 v[54:55], null, s7, v176, v[51:52]
	v_mad_u64_u32 v[55:56], null, s5, v177, v[53:54]
	v_mov_b32_e32 v51, v54
	v_lshlrev_b64 v[50:51], 4, v[50:51]
	v_mov_b32_e32 v53, v55
	v_lshlrev_b64 v[52:53], 4, v[52:53]
	v_add_co_u32 v50, vcc_lo, s12, v50
	v_add_co_ci_u32_e32 v51, vcc_lo, s13, v51, vcc_lo
	v_add_co_u32 v102, vcc_lo, v50, v52
	v_add_co_ci_u32_e32 v103, vcc_lo, v51, v53, vcc_lo
	ds_read_b128 v[50:53], v179
	ds_read_b128 v[54:57], v181 offset:2304
	ds_read_b128 v[58:61], v181 offset:4608
	;; [unrolled: 1-line block ×12, first 2 shown]
	v_add_co_u32 v104, vcc_lo, v102, s2
	v_add_co_ci_u32_e32 v105, vcc_lo, s3, v103, vcc_lo
	v_add_co_u32 v106, vcc_lo, v104, s2
	v_add_co_ci_u32_e32 v107, vcc_lo, s3, v105, vcc_lo
	;; [unrolled: 2-line block ×9, first 2 shown]
	s_waitcnt vmcnt(11) lgkmcnt(12)
	v_mul_f64 v[122:123], v[52:53], v[4:5]
	v_mul_f64 v[4:5], v[50:51], v[4:5]
	s_waitcnt vmcnt(10) lgkmcnt(11)
	v_mul_f64 v[124:125], v[56:57], v[8:9]
	v_mul_f64 v[8:9], v[54:55], v[8:9]
	;; [unrolled: 3-line block ×12, first 2 shown]
	v_fma_f64 v[50:51], v[50:51], v[2:3], v[122:123]
	v_fma_f64 v[4:5], v[2:3], v[52:53], -v[4:5]
	v_fma_f64 v[52:53], v[54:55], v[6:7], v[124:125]
	v_fma_f64 v[8:9], v[6:7], v[56:57], -v[8:9]
	;; [unrolled: 2-line block ×12, first 2 shown]
	v_mul_f64 v[2:3], v[50:51], s[0:1]
	v_mul_f64 v[4:5], v[4:5], s[0:1]
	;; [unrolled: 1-line block ×24, first 2 shown]
	v_add_co_u32 v50, vcc_lo, v120, s2
	v_add_co_ci_u32_e32 v51, vcc_lo, s3, v121, vcc_lo
	v_add_co_u32 v0, vcc_lo, 0x6800, v0
	v_add_co_ci_u32_e32 v1, vcc_lo, 0, v1, vcc_lo
	;; [unrolled: 2-line block ×3, first 2 shown]
	global_store_dwordx4 v[102:103], v[2:5], off
	global_store_dwordx4 v[104:105], v[6:9], off
	;; [unrolled: 1-line block ×12, first 2 shown]
	global_load_dwordx4 v[0:3], v[0:1], off offset:1024
	s_waitcnt vmcnt(0) lgkmcnt(0)
	v_mul_f64 v[4:5], v[100:101], v[2:3]
	v_mul_f64 v[2:3], v[98:99], v[2:3]
	v_fma_f64 v[4:5], v[98:99], v[0:1], v[4:5]
	v_fma_f64 v[2:3], v[0:1], v[100:101], -v[2:3]
	v_mul_f64 v[0:1], v[4:5], s[0:1]
	v_mul_f64 v[2:3], v[2:3], s[0:1]
	v_add_co_u32 v4, vcc_lo, v52, s2
	v_add_co_ci_u32_e32 v5, vcc_lo, s3, v53, vcc_lo
	global_store_dwordx4 v[4:5], v[0:3], off
.LBB0_15:
	s_endpgm
	.section	.rodata,"a",@progbits
	.p2align	6, 0x0
	.amdhsa_kernel bluestein_single_back_len1872_dim1_dp_op_CI_CI
		.amdhsa_group_segment_fixed_size 29952
		.amdhsa_private_segment_fixed_size 96
		.amdhsa_kernarg_size 104
		.amdhsa_user_sgpr_count 6
		.amdhsa_user_sgpr_private_segment_buffer 1
		.amdhsa_user_sgpr_dispatch_ptr 0
		.amdhsa_user_sgpr_queue_ptr 0
		.amdhsa_user_sgpr_kernarg_segment_ptr 1
		.amdhsa_user_sgpr_dispatch_id 0
		.amdhsa_user_sgpr_flat_scratch_init 0
		.amdhsa_user_sgpr_private_segment_size 0
		.amdhsa_wavefront_size32 1
		.amdhsa_uses_dynamic_stack 0
		.amdhsa_system_sgpr_private_segment_wavefront_offset 1
		.amdhsa_system_sgpr_workgroup_id_x 1
		.amdhsa_system_sgpr_workgroup_id_y 0
		.amdhsa_system_sgpr_workgroup_id_z 0
		.amdhsa_system_sgpr_workgroup_info 0
		.amdhsa_system_vgpr_workitem_id 0
		.amdhsa_next_free_vgpr 256
		.amdhsa_next_free_sgpr 52
		.amdhsa_reserve_vcc 1
		.amdhsa_reserve_flat_scratch 0
		.amdhsa_float_round_mode_32 0
		.amdhsa_float_round_mode_16_64 0
		.amdhsa_float_denorm_mode_32 3
		.amdhsa_float_denorm_mode_16_64 3
		.amdhsa_dx10_clamp 1
		.amdhsa_ieee_mode 1
		.amdhsa_fp16_overflow 0
		.amdhsa_workgroup_processor_mode 1
		.amdhsa_memory_ordered 1
		.amdhsa_forward_progress 0
		.amdhsa_shared_vgpr_count 0
		.amdhsa_exception_fp_ieee_invalid_op 0
		.amdhsa_exception_fp_denorm_src 0
		.amdhsa_exception_fp_ieee_div_zero 0
		.amdhsa_exception_fp_ieee_overflow 0
		.amdhsa_exception_fp_ieee_underflow 0
		.amdhsa_exception_fp_ieee_inexact 0
		.amdhsa_exception_int_div_zero 0
	.end_amdhsa_kernel
	.text
.Lfunc_end0:
	.size	bluestein_single_back_len1872_dim1_dp_op_CI_CI, .Lfunc_end0-bluestein_single_back_len1872_dim1_dp_op_CI_CI
                                        ; -- End function
	.section	.AMDGPU.csdata,"",@progbits
; Kernel info:
; codeLenInByte = 21232
; NumSgprs: 54
; NumVgprs: 256
; ScratchSize: 96
; MemoryBound: 0
; FloatMode: 240
; IeeeMode: 1
; LDSByteSize: 29952 bytes/workgroup (compile time only)
; SGPRBlocks: 6
; VGPRBlocks: 31
; NumSGPRsForWavesPerEU: 54
; NumVGPRsForWavesPerEU: 256
; Occupancy: 4
; WaveLimiterHint : 1
; COMPUTE_PGM_RSRC2:SCRATCH_EN: 1
; COMPUTE_PGM_RSRC2:USER_SGPR: 6
; COMPUTE_PGM_RSRC2:TRAP_HANDLER: 0
; COMPUTE_PGM_RSRC2:TGID_X_EN: 1
; COMPUTE_PGM_RSRC2:TGID_Y_EN: 0
; COMPUTE_PGM_RSRC2:TGID_Z_EN: 0
; COMPUTE_PGM_RSRC2:TIDIG_COMP_CNT: 0
	.text
	.p2alignl 6, 3214868480
	.fill 48, 4, 3214868480
	.type	__hip_cuid_32d72e91d420e427,@object ; @__hip_cuid_32d72e91d420e427
	.section	.bss,"aw",@nobits
	.globl	__hip_cuid_32d72e91d420e427
__hip_cuid_32d72e91d420e427:
	.byte	0                               ; 0x0
	.size	__hip_cuid_32d72e91d420e427, 1

	.ident	"AMD clang version 19.0.0git (https://github.com/RadeonOpenCompute/llvm-project roc-6.4.0 25133 c7fe45cf4b819c5991fe208aaa96edf142730f1d)"
	.section	".note.GNU-stack","",@progbits
	.addrsig
	.addrsig_sym __hip_cuid_32d72e91d420e427
	.amdgpu_metadata
---
amdhsa.kernels:
  - .args:
      - .actual_access:  read_only
        .address_space:  global
        .offset:         0
        .size:           8
        .value_kind:     global_buffer
      - .actual_access:  read_only
        .address_space:  global
        .offset:         8
        .size:           8
        .value_kind:     global_buffer
      - .actual_access:  read_only
        .address_space:  global
        .offset:         16
        .size:           8
        .value_kind:     global_buffer
      - .actual_access:  read_only
        .address_space:  global
        .offset:         24
        .size:           8
        .value_kind:     global_buffer
      - .actual_access:  read_only
        .address_space:  global
        .offset:         32
        .size:           8
        .value_kind:     global_buffer
      - .offset:         40
        .size:           8
        .value_kind:     by_value
      - .address_space:  global
        .offset:         48
        .size:           8
        .value_kind:     global_buffer
      - .address_space:  global
        .offset:         56
        .size:           8
        .value_kind:     global_buffer
      - .address_space:  global
        .offset:         64
        .size:           8
        .value_kind:     global_buffer
      - .address_space:  global
        .offset:         72
        .size:           8
        .value_kind:     global_buffer
      - .offset:         80
        .size:           4
        .value_kind:     by_value
      - .address_space:  global
        .offset:         88
        .size:           8
        .value_kind:     global_buffer
      - .address_space:  global
        .offset:         96
        .size:           8
        .value_kind:     global_buffer
    .group_segment_fixed_size: 29952
    .kernarg_segment_align: 8
    .kernarg_segment_size: 104
    .language:       OpenCL C
    .language_version:
      - 2
      - 0
    .max_flat_workgroup_size: 156
    .name:           bluestein_single_back_len1872_dim1_dp_op_CI_CI
    .private_segment_fixed_size: 96
    .sgpr_count:     54
    .sgpr_spill_count: 0
    .symbol:         bluestein_single_back_len1872_dim1_dp_op_CI_CI.kd
    .uniform_work_group_size: 1
    .uses_dynamic_stack: false
    .vgpr_count:     256
    .vgpr_spill_count: 23
    .wavefront_size: 32
    .workgroup_processor_mode: 1
amdhsa.target:   amdgcn-amd-amdhsa--gfx1030
amdhsa.version:
  - 1
  - 2
...

	.end_amdgpu_metadata
